;; amdgpu-corpus repo=ROCm/rocFFT kind=compiled arch=gfx906 opt=O3
	.text
	.amdgcn_target "amdgcn-amd-amdhsa--gfx906"
	.amdhsa_code_object_version 6
	.protected	bluestein_single_fwd_len1372_dim1_dp_op_CI_CI ; -- Begin function bluestein_single_fwd_len1372_dim1_dp_op_CI_CI
	.globl	bluestein_single_fwd_len1372_dim1_dp_op_CI_CI
	.p2align	8
	.type	bluestein_single_fwd_len1372_dim1_dp_op_CI_CI,@function
bluestein_single_fwd_len1372_dim1_dp_op_CI_CI: ; @bluestein_single_fwd_len1372_dim1_dp_op_CI_CI
; %bb.0:
	s_load_dwordx4 s[12:15], s[4:5], 0x28
	v_mul_u32_u24_e32 v1, 0x29d, v0
	s_mov_b64 s[38:39], s[2:3]
	v_lshrrev_b32_e32 v3, 16, v1
	s_mov_b64 s[36:37], s[0:1]
	v_lshl_add_u32 v1, s6, 1, v3
	v_mov_b32_e32 v2, 0
	s_add_u32 s36, s36, s7
	s_waitcnt lgkmcnt(0)
	v_cmp_gt_u64_e32 vcc, s[12:13], v[1:2]
	s_addc_u32 s37, s37, 0
	s_and_saveexec_b64 s[0:1], vcc
	s_cbranch_execz .LBB0_2
; %bb.1:
	s_load_dwordx4 s[8:11], s[4:5], 0x0
	s_load_dwordx4 s[16:19], s[4:5], 0x18
	s_load_dwordx2 s[12:13], s[4:5], 0x38
	v_and_b32_e32 v2, 1, v3
	v_cmp_eq_u32_e32 vcc, 1, v2
	v_mov_b32_e32 v2, 0x55c0
	s_waitcnt lgkmcnt(0)
	s_load_dwordx4 s[0:3], s[18:19], 0x0
	v_cndmask_b32_e32 v184, 0, v2, vcc
	v_mov_b32_e32 v173, s11
	s_movk_i32 s26, 0x60
	v_mov_b32_e32 v172, s10
	s_waitcnt lgkmcnt(0)
	v_mad_u64_u32 v[212:213], s[4:5], s2, v1, 0
	s_load_dwordx4 s[4:7], s[16:17], 0x0
                                        ; kill: killed $sgpr8_sgpr9
	s_mov_b32 s16, 0xb247c609
	v_mov_b32_e32 v2, v213
	v_mad_u64_u32 v[4:5], s[2:3], s3, v1, v[2:3]
	s_mov_b32 s19, 0xbfe77f67
	s_mov_b32 s17, 0x3fd5d0dc
	v_mov_b32_e32 v213, v4
	s_waitcnt lgkmcnt(0)
	v_mad_u64_u32 v[4:5], s[2:3], s6, v1, 0
	s_movk_i32 s6, 0x62
	s_mov_b32 s25, 0x3febfeb5
	v_mov_b32_e32 v2, v5
	v_mad_u64_u32 v[1:2], s[2:3], s7, v1, v[2:3]
	s_movk_i32 s7, 0x2000
	s_mov_b32 s23, 0xbfd5d0dc
	v_mov_b32_e32 v5, v1
	v_mul_lo_u16_e32 v1, 0x62, v3
	v_sub_u16_e32 v215, v0, v1
	v_lshlrev_b32_e32 v14, 4, v215
	global_load_dwordx4 v[10:13], v14, s[8:9]
	v_mad_u64_u32 v[0:1], s[2:3], s4, v215, 0
	v_add_u32_e32 v214, v184, v14
                                        ; kill: killed $vgpr14
	v_lshlrev_b32_e32 v60, 1, v215
	v_mad_u64_u32 v[1:2], s[2:3], s5, v215, v[1:2]
	v_lshlrev_b64 v[2:3], 4, v[4:5]
	v_mov_b32_e32 v4, s15
	v_add_co_u32_e32 v2, vcc, s14, v2
	v_lshlrev_b64 v[0:1], 4, v[0:1]
	v_addc_co_u32_e32 v3, vcc, v4, v3, vcc
	v_add_co_u32_e32 v8, vcc, v2, v0
	v_addc_co_u32_e32 v9, vcc, v3, v1, vcc
	global_load_dwordx4 v[0:3], v[8:9], off
	v_add_co_u32_e32 v216, vcc, s8, v14
	v_mov_b32_e32 v4, s9
	v_addc_co_u32_e32 v217, vcc, 0, v4, vcc
	s_mul_i32 s2, s5, 0x2ae0
	s_mul_hi_u32 s3, s4, 0x2ae0
	s_add_i32 s2, s3, s2
	s_mul_i32 s3, s4, 0x2ae0
	v_add_co_u32_e32 v8, vcc, s3, v8
	s_mulk_i32 s5, 0xdb40
	v_lshl_add_u32 v231, v215, 5, v184
	v_add_u32_e32 v29, 0x188, v60
	v_add_u32_e32 v30, 0x24c, v60
	;; [unrolled: 1-line block ×5, first 2 shown]
	v_and_b32_e32 v34, 1, v215
	v_and_b32_e32 v124, 3, v215
	s_mov_b32 s14, 0x5476071b
	s_mov_b32 s15, 0x3fe77f67
	;; [unrolled: 1-line block ×6, first 2 shown]
	s_movk_i32 s27, 0xc4
	s_waitcnt vmcnt(1)
	buffer_store_dword v10, off, s[36:39], 0 offset:80 ; 4-byte Folded Spill
	s_nop 0
	buffer_store_dword v11, off, s[36:39], 0 offset:84 ; 4-byte Folded Spill
	buffer_store_dword v12, off, s[36:39], 0 offset:88 ; 4-byte Folded Spill
	;; [unrolled: 1-line block ×3, first 2 shown]
	s_waitcnt vmcnt(4)
	v_mul_f64 v[4:5], v[2:3], v[12:13]
	v_fma_f64 v[4:5], v[0:1], v[10:11], v[4:5]
	v_mul_f64 v[0:1], v[0:1], v[12:13]
	v_fma_f64 v[6:7], v[2:3], v[10:11], -v[0:1]
	v_mov_b32_e32 v0, s2
	v_addc_co_u32_e32 v9, vcc, v9, v0, vcc
	v_add_co_u32_e32 v10, vcc, s7, v216
	v_addc_co_u32_e32 v11, vcc, 0, v217, vcc
	global_load_dwordx4 v[15:18], v[10:11], off offset:2784
	global_load_dwordx4 v[0:3], v[8:9], off
	ds_write_b128 v214, v[4:7]
	v_add_co_u32_e32 v128, vcc, s6, v215
	s_mul_hi_u32 s6, s4, 0xffffdb40
	s_sub_i32 s6, s6, s4
	s_add_i32 s5, s6, s5
	s_mulk_i32 s4, 0xdb40
	v_add_co_u32_e32 v8, vcc, s4, v8
	s_movk_i32 s6, 0x3000
                                        ; kill: killed $vgpr10 killed $vgpr11
	v_lshlrev_b32_e32 v28, 1, v128
	v_and_b32_e32 v125, 3, v128
	s_waitcnt vmcnt(1)
	buffer_store_dword v15, off, s[36:39], 0 offset:112 ; 4-byte Folded Spill
	s_nop 0
	buffer_store_dword v16, off, s[36:39], 0 offset:116 ; 4-byte Folded Spill
	buffer_store_dword v17, off, s[36:39], 0 offset:120 ; 4-byte Folded Spill
	;; [unrolled: 1-line block ×3, first 2 shown]
	s_waitcnt vmcnt(4)
	v_mul_f64 v[4:5], v[2:3], v[17:18]
	v_fma_f64 v[4:5], v[0:1], v[15:16], v[4:5]
	v_mul_f64 v[0:1], v[0:1], v[17:18]
	v_fma_f64 v[6:7], v[2:3], v[15:16], -v[0:1]
	v_mov_b32_e32 v0, s5
	v_addc_co_u32_e32 v9, vcc, v9, v0, vcc
	ds_write_b128 v214, v[4:7] offset:10976
	global_load_dwordx4 v[0:3], v[8:9], off
	global_load_dwordx4 v[15:18], v14, s[8:9] offset:1568
	v_add_co_u32_e32 v8, vcc, s3, v8
	s_waitcnt vmcnt(0)
	buffer_store_dword v15, off, s[36:39], 0 offset:32 ; 4-byte Folded Spill
	s_nop 0
	buffer_store_dword v16, off, s[36:39], 0 offset:36 ; 4-byte Folded Spill
	buffer_store_dword v17, off, s[36:39], 0 offset:40 ; 4-byte Folded Spill
	;; [unrolled: 1-line block ×3, first 2 shown]
	v_mul_f64 v[4:5], v[2:3], v[17:18]
	v_fma_f64 v[4:5], v[0:1], v[15:16], v[4:5]
	v_mul_f64 v[0:1], v[0:1], v[17:18]
	v_fma_f64 v[6:7], v[2:3], v[15:16], -v[0:1]
	v_mov_b32_e32 v0, s2
	v_addc_co_u32_e32 v9, vcc, v9, v0, vcc
	v_add_co_u32_e32 v12, vcc, s6, v216
	v_addc_co_u32_e32 v13, vcc, 0, v217, vcc
	global_load_dwordx4 v[15:18], v[12:13], off offset:256
	global_load_dwordx4 v[0:3], v[8:9], off
	ds_write_b128 v214, v[4:7] offset:1568
	v_add_co_u32_e32 v8, vcc, s4, v8
	s_movk_i32 s6, 0x1000
                                        ; kill: killed $vgpr12 killed $vgpr13
	s_waitcnt vmcnt(1)
	buffer_store_dword v15, off, s[36:39], 0 offset:48 ; 4-byte Folded Spill
	s_nop 0
	buffer_store_dword v16, off, s[36:39], 0 offset:52 ; 4-byte Folded Spill
	buffer_store_dword v17, off, s[36:39], 0 offset:56 ; 4-byte Folded Spill
	buffer_store_dword v18, off, s[36:39], 0 offset:60 ; 4-byte Folded Spill
	s_waitcnt vmcnt(4)
	v_mul_f64 v[4:5], v[2:3], v[17:18]
	v_fma_f64 v[4:5], v[0:1], v[15:16], v[4:5]
	v_mul_f64 v[0:1], v[0:1], v[17:18]
	v_fma_f64 v[6:7], v[2:3], v[15:16], -v[0:1]
	v_mov_b32_e32 v0, s5
	v_addc_co_u32_e32 v9, vcc, v9, v0, vcc
	ds_write_b128 v214, v[4:7] offset:12544
	global_load_dwordx4 v[0:3], v[8:9], off
	global_load_dwordx4 v[15:18], v14, s[8:9] offset:3136
	v_add_co_u32_e32 v8, vcc, s3, v8
	s_mov_b32 s9, 0xbfe11646
	s_mov_b32 s8, 0xe976ee23
	s_waitcnt vmcnt(0)
	buffer_store_dword v15, off, s[36:39], 0 offset:64 ; 4-byte Folded Spill
	s_nop 0
	buffer_store_dword v16, off, s[36:39], 0 offset:68 ; 4-byte Folded Spill
	buffer_store_dword v17, off, s[36:39], 0 offset:72 ; 4-byte Folded Spill
	;; [unrolled: 1-line block ×3, first 2 shown]
	v_mul_f64 v[4:5], v[2:3], v[17:18]
	v_fma_f64 v[4:5], v[0:1], v[15:16], v[4:5]
	v_mul_f64 v[0:1], v[0:1], v[17:18]
	v_fma_f64 v[6:7], v[2:3], v[15:16], -v[0:1]
	v_mov_b32_e32 v0, s2
	v_addc_co_u32_e32 v9, vcc, v9, v0, vcc
	ds_write_b128 v214, v[4:7] offset:3136
	global_load_dwordx4 v[0:3], v[8:9], off
	global_load_dwordx4 v[14:17], v[12:13], off offset:1824
	v_add_co_u32_e32 v8, vcc, s4, v8
	s_waitcnt vmcnt(0)
	buffer_store_dword v14, off, s[36:39], 0 offset:96 ; 4-byte Folded Spill
	s_nop 0
	buffer_store_dword v15, off, s[36:39], 0 offset:100 ; 4-byte Folded Spill
	buffer_store_dword v16, off, s[36:39], 0 offset:104 ; 4-byte Folded Spill
	buffer_store_dword v17, off, s[36:39], 0 offset:108 ; 4-byte Folded Spill
	v_mul_f64 v[4:5], v[2:3], v[16:17]
	v_fma_f64 v[4:5], v[0:1], v[14:15], v[4:5]
	v_mul_f64 v[0:1], v[0:1], v[16:17]
	v_fma_f64 v[6:7], v[2:3], v[14:15], -v[0:1]
	v_mov_b32_e32 v0, s5
	v_addc_co_u32_e32 v9, vcc, v9, v0, vcc
	v_add_co_u32_e32 v14, vcc, s6, v216
	v_addc_co_u32_e32 v15, vcc, 0, v217, vcc
	global_load_dwordx4 v[16:19], v[14:15], off offset:608
	global_load_dwordx4 v[0:3], v[8:9], off
	ds_write_b128 v214, v[4:7] offset:14112
	v_add_co_u32_e32 v8, vcc, s3, v8
	s_movk_i32 s6, 0x4000
                                        ; kill: killed $vgpr14 killed $vgpr15
	s_waitcnt vmcnt(1)
	buffer_store_dword v16, off, s[36:39], 0 offset:128 ; 4-byte Folded Spill
	s_nop 0
	buffer_store_dword v17, off, s[36:39], 0 offset:132 ; 4-byte Folded Spill
	buffer_store_dword v18, off, s[36:39], 0 offset:136 ; 4-byte Folded Spill
	;; [unrolled: 1-line block ×3, first 2 shown]
	s_waitcnt vmcnt(4)
	v_mul_f64 v[4:5], v[2:3], v[18:19]
	v_fma_f64 v[4:5], v[0:1], v[16:17], v[4:5]
	v_mul_f64 v[0:1], v[0:1], v[18:19]
	v_fma_f64 v[6:7], v[2:3], v[16:17], -v[0:1]
	v_mov_b32_e32 v0, s2
	v_addc_co_u32_e32 v9, vcc, v9, v0, vcc
	ds_write_b128 v214, v[4:7] offset:4704
	global_load_dwordx4 v[0:3], v[8:9], off
	global_load_dwordx4 v[16:19], v[12:13], off offset:3392
	v_add_co_u32_e32 v8, vcc, s4, v8
	s_waitcnt vmcnt(0)
	buffer_store_dword v16, off, s[36:39], 0 offset:144 ; 4-byte Folded Spill
	s_nop 0
	buffer_store_dword v17, off, s[36:39], 0 offset:148 ; 4-byte Folded Spill
	buffer_store_dword v18, off, s[36:39], 0 offset:152 ; 4-byte Folded Spill
	;; [unrolled: 1-line block ×3, first 2 shown]
	v_mul_f64 v[4:5], v[2:3], v[18:19]
	v_fma_f64 v[4:5], v[0:1], v[16:17], v[4:5]
	v_mul_f64 v[0:1], v[0:1], v[18:19]
	v_fma_f64 v[6:7], v[2:3], v[16:17], -v[0:1]
	v_mov_b32_e32 v0, s5
	v_addc_co_u32_e32 v9, vcc, v9, v0, vcc
	ds_write_b128 v214, v[4:7] offset:15680
	global_load_dwordx4 v[0:3], v[8:9], off
	global_load_dwordx4 v[16:19], v[14:15], off offset:2176
	v_add_co_u32_e32 v8, vcc, s3, v8
	s_waitcnt vmcnt(0)
	buffer_store_dword v16, off, s[36:39], 0 offset:160 ; 4-byte Folded Spill
	s_nop 0
	buffer_store_dword v17, off, s[36:39], 0 offset:164 ; 4-byte Folded Spill
	buffer_store_dword v18, off, s[36:39], 0 offset:168 ; 4-byte Folded Spill
	;; [unrolled: 1-line block ×3, first 2 shown]
	v_mul_f64 v[4:5], v[2:3], v[18:19]
	v_fma_f64 v[4:5], v[0:1], v[16:17], v[4:5]
	v_mul_f64 v[0:1], v[0:1], v[18:19]
	v_fma_f64 v[6:7], v[2:3], v[16:17], -v[0:1]
	v_mov_b32_e32 v0, s2
	v_addc_co_u32_e32 v9, vcc, v9, v0, vcc
	v_add_co_u32_e32 v12, vcc, s6, v216
	v_addc_co_u32_e32 v13, vcc, 0, v217, vcc
	global_load_dwordx4 v[0:3], v[8:9], off
	global_load_dwordx4 v[226:229], v[12:13], off offset:864
	ds_write_b128 v214, v[4:7] offset:6272
	v_add_co_u32_e32 v8, vcc, s4, v8
                                        ; kill: killed $vgpr12 killed $vgpr13
	s_mov_b32 s6, 0x429ad128
	s_mov_b32 s7, 0xbfebfeb5
	;; [unrolled: 1-line block ×3, first 2 shown]
	s_waitcnt vmcnt(0)
	v_mul_f64 v[4:5], v[2:3], v[228:229]
	v_fma_f64 v[4:5], v[0:1], v[226:227], v[4:5]
	v_mul_f64 v[0:1], v[0:1], v[228:229]
	v_fma_f64 v[6:7], v[2:3], v[226:227], -v[0:1]
	v_mov_b32_e32 v0, s5
	v_addc_co_u32_e32 v9, vcc, v9, v0, vcc
	ds_write_b128 v214, v[4:7] offset:17248
	global_load_dwordx4 v[0:3], v[8:9], off
	global_load_dwordx4 v[222:225], v[14:15], off offset:3744
	v_add_co_u32_e32 v8, vcc, s3, v8
	s_waitcnt vmcnt(0)
	v_mul_f64 v[4:5], v[2:3], v[224:225]
	v_fma_f64 v[4:5], v[0:1], v[222:223], v[4:5]
	v_mul_f64 v[0:1], v[0:1], v[224:225]
	v_fma_f64 v[6:7], v[2:3], v[222:223], -v[0:1]
	v_mov_b32_e32 v0, s2
	v_addc_co_u32_e32 v9, vcc, v9, v0, vcc
	ds_write_b128 v214, v[4:7] offset:7840
	global_load_dwordx4 v[0:3], v[8:9], off
	global_load_dwordx4 v[218:221], v[12:13], off offset:2432
	s_waitcnt vmcnt(0)
	v_mul_f64 v[4:5], v[2:3], v[220:221]
	v_fma_f64 v[4:5], v[0:1], v[218:219], v[4:5]
	v_mul_f64 v[0:1], v[0:1], v[220:221]
	v_fma_f64 v[6:7], v[2:3], v[218:219], -v[0:1]
	v_mov_b32_e32 v0, s5
	ds_write_b128 v214, v[4:7] offset:18816
	v_add_co_u32_e32 v4, vcc, s4, v8
	v_addc_co_u32_e32 v5, vcc, v9, v0, vcc
	global_load_dwordx4 v[0:3], v[4:5], off
	global_load_dwordx4 v[14:17], v[10:11], off offset:1216
	s_mov_b32 s4, 0x37e14327
	s_mov_b32 s5, 0x3fe948f6
	s_waitcnt vmcnt(0)
	buffer_store_dword v14, off, s[36:39], 0 ; 4-byte Folded Spill
	s_nop 0
	buffer_store_dword v15, off, s[36:39], 0 offset:4 ; 4-byte Folded Spill
	buffer_store_dword v16, off, s[36:39], 0 offset:8 ; 4-byte Folded Spill
	;; [unrolled: 1-line block ×3, first 2 shown]
	v_mul_f64 v[6:7], v[2:3], v[16:17]
	v_fma_f64 v[56:57], v[0:1], v[14:15], v[6:7]
	v_mul_f64 v[0:1], v[0:1], v[16:17]
	v_fma_f64 v[58:59], v[2:3], v[14:15], -v[0:1]
	v_add_co_u32_e32 v0, vcc, s3, v4
	v_mov_b32_e32 v1, s2
	v_addc_co_u32_e32 v1, vcc, v5, v1, vcc
                                        ; kill: killed $vgpr0 killed $vgpr1
	s_movk_i32 s2, 0xfc
	ds_write_b128 v214, v[56:59] offset:9408
	global_load_dwordx4 v[56:59], v[0:1], off
	global_load_dwordx4 v[2:5], v[12:13], off offset:4000
	s_waitcnt vmcnt(0)
	v_mul_f64 v[0:1], v[58:59], v[4:5]
	v_fma_f64 v[61:62], v[56:57], v[2:3], v[0:1]
	v_mul_f64 v[0:1], v[56:57], v[4:5]
	buffer_store_dword v2, off, s[36:39], 0 offset:16 ; 4-byte Folded Spill
	s_nop 0
	buffer_store_dword v3, off, s[36:39], 0 offset:20 ; 4-byte Folded Spill
	buffer_store_dword v4, off, s[36:39], 0 offset:24 ; 4-byte Folded Spill
	;; [unrolled: 1-line block ×3, first 2 shown]
	v_fma_f64 v[63:64], v[58:59], v[2:3], -v[0:1]
	v_lshl_add_u32 v0, v128, 5, v184
	ds_write_b128 v214, v[61:64] offset:20384
	s_waitcnt vmcnt(0) lgkmcnt(0)
	s_barrier
	ds_read_b128 v[56:59], v214
	ds_read_b128 v[61:64], v214 offset:10976
	ds_read_b128 v[65:68], v214 offset:1568
	;; [unrolled: 1-line block ×13, first 2 shown]
	s_waitcnt lgkmcnt(12)
	v_add_f64 v[61:62], v[56:57], -v[61:62]
	v_add_f64 v[63:64], v[58:59], -v[63:64]
	s_waitcnt lgkmcnt(10)
	v_add_f64 v[69:70], v[65:66], -v[69:70]
	v_add_f64 v[71:72], v[67:68], -v[71:72]
	;; [unrolled: 3-line block ×7, first 2 shown]
	v_fma_f64 v[56:57], v[56:57], 2.0, -v[61:62]
	v_fma_f64 v[58:59], v[58:59], 2.0, -v[63:64]
	;; [unrolled: 1-line block ×14, first 2 shown]
	s_barrier
	ds_write_b128 v231, v[56:59]
	ds_write_b128 v231, v[61:64] offset:16
	buffer_store_dword v0, off, s[36:39], 0 offset:212 ; 4-byte Folded Spill
	ds_write_b128 v0, v[65:68]
	ds_write_b128 v0, v[69:72] offset:16
	v_lshl_add_u32 v0, v29, 4, v184
	buffer_store_dword v0, off, s[36:39], 0 offset:204 ; 4-byte Folded Spill
	ds_write_b128 v0, v[73:76]
	ds_write_b128 v0, v[77:80] offset:16
	v_lshl_add_u32 v0, v30, 4, v184
	;; [unrolled: 4-line block ×5, first 2 shown]
	buffer_store_dword v0, off, s[36:39], 0 offset:192 ; 4-byte Folded Spill
	ds_write_b128 v0, v[105:108]
	ds_write_b128 v0, v[109:112] offset:16
	v_lshlrev_b32_e32 v0, 4, v34
	s_waitcnt vmcnt(0) lgkmcnt(0)
	s_barrier
	ds_read_b128 v[61:64], v214
	ds_read_b128 v[65:68], v214 offset:10976
	ds_read_b128 v[69:72], v214 offset:1568
	;; [unrolled: 1-line block ×13, first 2 shown]
	global_load_dwordx4 v[56:59], v0, s[10:11]
	s_waitcnt vmcnt(0) lgkmcnt(0)
	s_barrier
	s_mov_b32 s10, 0xaaaaaaaa
	s_mov_b32 s11, 0xbff2aaaa
	v_mul_f64 v[0:1], v[67:68], v[58:59]
	v_mul_f64 v[2:3], v[65:66], v[58:59]
	;; [unrolled: 1-line block ×12, first 2 shown]
	v_fma_f64 v[0:1], v[65:66], v[56:57], -v[0:1]
	v_fma_f64 v[2:3], v[67:68], v[56:57], v[2:3]
	v_fma_f64 v[4:5], v[73:74], v[56:57], -v[4:5]
	v_fma_f64 v[6:7], v[75:76], v[56:57], v[6:7]
	v_mul_f64 v[24:25], v[115:116], v[58:59]
	v_mul_f64 v[26:27], v[113:114], v[58:59]
	v_fma_f64 v[8:9], v[81:82], v[56:57], -v[8:9]
	v_fma_f64 v[10:11], v[83:84], v[56:57], v[10:11]
	v_fma_f64 v[12:13], v[89:90], v[56:57], -v[12:13]
	v_fma_f64 v[14:15], v[91:92], v[56:57], v[14:15]
	;; [unrolled: 2-line block ×5, first 2 shown]
	v_add_f64 v[65:66], v[61:62], -v[0:1]
	v_add_f64 v[67:68], v[63:64], -v[2:3]
	;; [unrolled: 1-line block ×12, first 2 shown]
	v_fma_f64 v[61:62], v[61:62], 2.0, -v[65:66]
	v_fma_f64 v[63:64], v[63:64], 2.0, -v[67:68]
	;; [unrolled: 1-line block ×4, first 2 shown]
	v_add_f64 v[113:114], v[109:110], -v[24:25]
	v_add_f64 v[115:116], v[111:112], -v[26:27]
	v_fma_f64 v[77:78], v[77:78], 2.0, -v[81:82]
	v_fma_f64 v[79:80], v[79:80], 2.0, -v[83:84]
	v_and_or_b32 v0, v60, s2, v34
	s_movk_i32 s2, 0x1fc
	v_fma_f64 v[85:86], v[85:86], 2.0, -v[89:90]
	v_fma_f64 v[87:88], v[87:88], 2.0, -v[91:92]
	;; [unrolled: 1-line block ×6, first 2 shown]
	v_lshl_add_u32 v230, v0, 4, v184
	v_and_or_b32 v0, v28, s2, v34
	v_lshl_add_u32 v0, v0, 4, v184
	s_movk_i32 s2, 0x3fc
	v_fma_f64 v[109:110], v[109:110], 2.0, -v[113:114]
	v_fma_f64 v[111:112], v[111:112], 2.0, -v[115:116]
	ds_write_b128 v230, v[61:64]
	ds_write_b128 v230, v[65:68] offset:32
	buffer_store_dword v0, off, s[36:39], 0 offset:208 ; 4-byte Folded Spill
	ds_write_b128 v0, v[69:72]
	ds_write_b128 v0, v[73:76] offset:32
	v_and_or_b32 v0, v29, s2, v34
	v_lshl_add_u32 v0, v0, 4, v184
	buffer_store_dword v0, off, s[36:39], 0 offset:196 ; 4-byte Folded Spill
	ds_write_b128 v0, v[77:80]
	ds_write_b128 v0, v[81:84] offset:32
	v_and_or_b32 v0, v30, s2, v34
	s_movk_i32 s2, 0x7fc
	v_lshl_add_u32 v54, v0, 4, v184
	v_and_or_b32 v0, v31, s2, v34
	v_lshl_add_u32 v55, v0, 4, v184
	v_and_or_b32 v0, v32, s2, v34
	v_lshl_add_u32 v0, v0, 4, v184
	s_movk_i32 s2, 0x5fc
	ds_write_b128 v54, v[85:88]
	ds_write_b128 v54, v[89:92] offset:32
	ds_write_b128 v55, v[93:96]
	ds_write_b128 v55, v[97:100] offset:32
	buffer_store_dword v0, off, s[36:39], 0 offset:176 ; 4-byte Folded Spill
	ds_write_b128 v0, v[101:104]
	ds_write_b128 v0, v[105:108] offset:32
	v_and_or_b32 v0, v33, s2, v34
	v_lshl_add_u32 v0, v0, 4, v184
	buffer_store_dword v0, off, s[36:39], 0 offset:188 ; 4-byte Folded Spill
	ds_write_b128 v0, v[109:112]
	ds_write_b128 v0, v[113:116] offset:32
	v_mad_u64_u32 v[0:1], s[2:3], v124, s26, v[172:173]
	s_waitcnt vmcnt(0) lgkmcnt(0)
	s_barrier
	ds_read_b128 v[112:115], v214
	ds_read_b128 v[68:71], v214 offset:3136
	ds_read_b128 v[80:83], v214 offset:6272
	;; [unrolled: 1-line block ×13, first 2 shown]
	global_load_dwordx4 v[60:63], v[0:1], off offset:80
	global_load_dwordx4 v[64:67], v[0:1], off offset:64
	;; [unrolled: 1-line block ×4, first 2 shown]
	v_mad_u64_u32 v[24:25], s[2:3], v125, s26, v[172:173]
	s_mov_b32 s2, 0x36b3c0b5
	s_mov_b32 s3, 0x3fac98ee
	s_waitcnt vmcnt(3) lgkmcnt(9)
	v_mul_f64 v[14:15], v[90:91], v[62:63]
	s_waitcnt vmcnt(2)
	v_mul_f64 v[10:11], v[86:87], v[66:67]
	s_waitcnt vmcnt(1)
	;; [unrolled: 2-line block ×3, first 2 shown]
	v_mul_f64 v[2:3], v[70:71], v[78:79]
	v_mul_f64 v[4:5], v[68:69], v[78:79]
	;; [unrolled: 1-line block ×5, first 2 shown]
	v_fma_f64 v[14:15], v[88:89], v[60:61], -v[14:15]
	v_fma_f64 v[10:11], v[84:85], v[64:65], -v[10:11]
	;; [unrolled: 1-line block ×4, first 2 shown]
	v_fma_f64 v[4:5], v[70:71], v[76:77], v[4:5]
	global_load_dwordx4 v[68:71], v[0:1], off offset:112
	global_load_dwordx4 v[92:95], v[0:1], off offset:96
	v_fma_f64 v[8:9], v[82:83], v[72:73], v[8:9]
	v_fma_f64 v[12:13], v[86:87], v[64:65], v[12:13]
	;; [unrolled: 1-line block ×3, first 2 shown]
	s_waitcnt vmcnt(1) lgkmcnt(7)
	v_mul_f64 v[20:21], v[102:103], v[70:71]
	s_waitcnt vmcnt(0)
	v_mul_f64 v[0:1], v[98:99], v[94:95]
	v_mul_f64 v[18:19], v[96:97], v[94:95]
	;; [unrolled: 1-line block ×3, first 2 shown]
	v_fma_f64 v[20:21], v[100:101], v[68:69], -v[20:21]
	v_fma_f64 v[0:1], v[96:97], v[92:93], -v[0:1]
	v_fma_f64 v[18:19], v[98:99], v[92:93], v[18:19]
	v_fma_f64 v[22:23], v[102:103], v[68:69], v[22:23]
	global_load_dwordx4 v[80:83], v[24:25], off offset:80
	global_load_dwordx4 v[84:87], v[24:25], off offset:64
	;; [unrolled: 1-line block ×4, first 2 shown]
	s_waitcnt vmcnt(0) lgkmcnt(5)
	v_mul_f64 v[88:89], v[104:105], v[102:103]
	v_mul_f64 v[26:27], v[106:107], v[102:103]
	v_fma_f64 v[126:127], v[106:107], v[100:101], v[88:89]
	s_waitcnt lgkmcnt(4)
	v_mul_f64 v[88:89], v[131:132], v[98:99]
	v_fma_f64 v[26:27], v[104:105], v[100:101], -v[26:27]
	v_fma_f64 v[145:146], v[129:130], v[96:97], -v[88:89]
	v_mul_f64 v[88:89], v[129:130], v[98:99]
	v_fma_f64 v[147:148], v[131:132], v[96:97], v[88:89]
	s_waitcnt lgkmcnt(3)
	v_mul_f64 v[88:89], v[135:136], v[86:87]
	v_fma_f64 v[149:150], v[133:134], v[84:85], -v[88:89]
	v_mul_f64 v[88:89], v[133:134], v[86:87]
	v_fma_f64 v[151:152], v[135:136], v[84:85], v[88:89]
	s_waitcnt lgkmcnt(2)
	v_mul_f64 v[88:89], v[139:140], v[82:83]
	v_fma_f64 v[153:154], v[137:138], v[80:81], -v[88:89]
	v_mul_f64 v[88:89], v[137:138], v[82:83]
	v_fma_f64 v[155:156], v[139:140], v[80:81], v[88:89]
	global_load_dwordx4 v[88:91], v[24:25], off offset:112
	global_load_dwordx4 v[104:107], v[24:25], off offset:96
	s_waitcnt vmcnt(0) lgkmcnt(0)
	s_barrier
	v_mul_f64 v[24:25], v[122:123], v[106:107]
	v_fma_f64 v[24:25], v[120:121], v[104:105], -v[24:25]
	v_mul_f64 v[120:121], v[120:121], v[106:107]
	v_fma_f64 v[157:158], v[122:123], v[104:105], v[120:121]
	v_mul_f64 v[120:121], v[118:119], v[90:91]
	v_fma_f64 v[159:160], v[116:117], v[88:89], -v[120:121]
	v_mul_f64 v[116:117], v[116:117], v[90:91]
	v_fma_f64 v[161:162], v[118:119], v[88:89], v[116:117]
	v_add_f64 v[116:117], v[2:3], v[20:21]
	v_add_f64 v[118:119], v[4:5], v[22:23]
	v_add_f64 v[2:3], v[2:3], -v[20:21]
	v_add_f64 v[4:5], v[4:5], -v[22:23]
	v_add_f64 v[20:21], v[6:7], v[0:1]
	v_add_f64 v[22:23], v[8:9], v[18:19]
	v_add_f64 v[0:1], v[6:7], -v[0:1]
	v_add_f64 v[6:7], v[8:9], -v[18:19]
	;; [unrolled: 4-line block ×4, first 2 shown]
	v_add_f64 v[116:117], v[116:117], -v[8:9]
	v_add_f64 v[118:119], v[118:119], -v[18:19]
	;; [unrolled: 1-line block ×4, first 2 shown]
	v_add_f64 v[129:130], v[10:11], v[0:1]
	v_add_f64 v[131:132], v[12:13], v[6:7]
	v_add_f64 v[133:134], v[10:11], -v[0:1]
	v_add_f64 v[135:136], v[12:13], -v[6:7]
	;; [unrolled: 1-line block ×4, first 2 shown]
	v_add_f64 v[8:9], v[8:9], v[14:15]
	v_add_f64 v[14:15], v[18:19], v[16:17]
	v_add_f64 v[10:11], v[2:3], -v[10:11]
	v_add_f64 v[12:13], v[4:5], -v[12:13]
	v_add_f64 v[2:3], v[129:130], v[2:3]
	v_add_f64 v[4:5], v[131:132], v[4:5]
	v_mul_f64 v[16:17], v[116:117], s[4:5]
	v_mul_f64 v[18:19], v[118:119], s[4:5]
	v_add_f64 v[112:113], v[112:113], v[8:9]
	v_add_f64 v[114:115], v[114:115], v[14:15]
	v_mul_f64 v[116:117], v[20:21], s[2:3]
	v_mul_f64 v[118:119], v[22:23], s[2:3]
	;; [unrolled: 1-line block ×6, first 2 shown]
	v_fma_f64 v[8:9], v[8:9], s[10:11], v[112:113]
	v_fma_f64 v[14:15], v[14:15], s[10:11], v[114:115]
	;; [unrolled: 1-line block ×4, first 2 shown]
	v_fma_f64 v[116:117], v[120:121], s[14:15], -v[116:117]
	v_fma_f64 v[118:119], v[122:123], s[14:15], -v[118:119]
	;; [unrolled: 1-line block ×4, first 2 shown]
	v_fma_f64 v[120:121], v[10:11], s[16:17], v[129:130]
	v_fma_f64 v[122:123], v[12:13], s[16:17], v[131:132]
	v_fma_f64 v[0:1], v[0:1], s[24:25], -v[129:130]
	v_fma_f64 v[6:7], v[6:7], s[24:25], -v[131:132]
	v_fma_f64 v[10:11], v[10:11], s[22:23], v[133:134]
	v_fma_f64 v[12:13], v[12:13], s[22:23], v[135:136]
	v_add_f64 v[20:21], v[20:21], v[8:9]
	v_add_f64 v[22:23], v[22:23], v[14:15]
	;; [unrolled: 1-line block ×6, first 2 shown]
	v_fma_f64 v[16:17], v[2:3], s[20:21], v[120:121]
	v_fma_f64 v[18:19], v[4:5], s[20:21], v[122:123]
	;; [unrolled: 1-line block ×6, first 2 shown]
	v_add_f64 v[10:11], v[147:148], v[157:158]
	v_add_f64 v[12:13], v[145:146], -v[24:25]
	v_add_f64 v[118:119], v[22:23], -v[16:17]
	v_add_f64 v[116:117], v[18:19], v[20:21]
	v_add_f64 v[131:132], v[0:1], v[135:136]
	v_add_f64 v[135:136], v[135:136], -v[0:1]
	v_add_f64 v[122:123], v[14:15], -v[2:3]
	v_add_f64 v[120:121], v[4:5], v[8:9]
	v_add_f64 v[137:138], v[8:9], -v[4:5]
	v_add_f64 v[139:140], v[2:3], v[14:15]
	v_add_f64 v[0:1], v[26:27], v[159:160]
	;; [unrolled: 1-line block ×4, first 2 shown]
	v_add_f64 v[129:130], v[133:134], -v[6:7]
	v_add_f64 v[133:134], v[6:7], v[133:134]
	v_add_f64 v[141:142], v[20:21], -v[18:19]
	v_add_f64 v[143:144], v[16:17], v[22:23]
	v_add_f64 v[4:5], v[26:27], -v[159:160]
	v_add_f64 v[6:7], v[126:127], -v[161:162]
	;; [unrolled: 1-line block ×3, first 2 shown]
	v_add_f64 v[16:17], v[149:150], v[153:154]
	v_add_f64 v[18:19], v[151:152], v[155:156]
	v_add_f64 v[22:23], v[155:156], -v[151:152]
	v_add_f64 v[24:25], v[8:9], v[0:1]
	v_add_f64 v[26:27], v[10:11], v[2:3]
	v_add_f64 v[20:21], v[153:154], -v[149:150]
	v_add_f64 v[126:127], v[8:9], -v[0:1]
	;; [unrolled: 1-line block ×7, first 2 shown]
	v_add_f64 v[149:150], v[22:23], v[14:15]
	v_add_f64 v[153:154], v[22:23], -v[14:15]
	v_add_f64 v[14:15], v[14:15], -v[6:7]
	v_add_f64 v[16:17], v[16:17], v[24:25]
	v_add_f64 v[18:19], v[18:19], v[26:27]
	v_add_f64 v[22:23], v[6:7], -v[22:23]
	v_mul_f64 v[0:1], v[0:1], s[4:5]
	v_mul_f64 v[2:3], v[2:3], s[4:5]
	v_add_f64 v[6:7], v[149:150], v[6:7]
	v_mul_f64 v[26:27], v[10:11], s[2:3]
	v_mul_f64 v[149:150], v[153:154], s[8:9]
	v_add_f64 v[108:109], v[108:109], v[16:17]
	v_add_f64 v[110:111], v[110:111], v[18:19]
	v_mul_f64 v[153:154], v[14:15], s[6:7]
	v_add_f64 v[147:148], v[20:21], v[12:13]
	v_add_f64 v[151:152], v[20:21], -v[12:13]
	v_add_f64 v[12:13], v[12:13], -v[4:5]
	v_mul_f64 v[24:25], v[8:9], s[2:3]
	v_fma_f64 v[8:9], v[8:9], s[2:3], v[0:1]
	v_fma_f64 v[16:17], v[16:17], s[10:11], v[108:109]
	;; [unrolled: 1-line block ×4, first 2 shown]
	v_fma_f64 v[26:27], v[145:146], s[14:15], -v[26:27]
	v_fma_f64 v[0:1], v[126:127], s[18:19], -v[0:1]
	v_fma_f64 v[2:3], v[145:146], s[18:19], -v[2:3]
	v_fma_f64 v[145:146], v[22:23], s[16:17], v[149:150]
	v_fma_f64 v[14:15], v[14:15], s[24:25], -v[149:150]
	v_fma_f64 v[22:23], v[22:23], s[22:23], v[153:154]
	v_add_f64 v[20:21], v[4:5], -v[20:21]
	v_add_f64 v[4:5], v[147:148], v[4:5]
	v_mul_f64 v[147:148], v[151:152], s[8:9]
	v_mul_f64 v[151:152], v[12:13], s[6:7]
	v_fma_f64 v[24:25], v[126:127], s[14:15], -v[24:25]
	v_add_f64 v[10:11], v[10:11], v[18:19]
	v_add_f64 v[26:27], v[26:27], v[18:19]
	;; [unrolled: 1-line block ×4, first 2 shown]
	v_fma_f64 v[18:19], v[6:7], s[20:21], v[145:146]
	v_fma_f64 v[14:15], v[6:7], s[20:21], v[14:15]
	v_fma_f64 v[6:7], v[6:7], s[20:21], v[22:23]
	v_fma_f64 v[126:127], v[20:21], s[16:17], v[147:148]
	v_fma_f64 v[12:13], v[12:13], s[24:25], -v[147:148]
	v_fma_f64 v[20:21], v[20:21], s[22:23], v[151:152]
	v_add_f64 v[24:25], v[24:25], v[16:17]
	v_add_f64 v[8:9], v[8:9], v[16:17]
	;; [unrolled: 1-line block ×3, first 2 shown]
	v_add_f64 v[161:162], v[0:1], -v[6:7]
	v_lshrrev_b32_e32 v0, 2, v215
	v_fma_f64 v[16:17], v[4:5], s[20:21], v[126:127]
	v_mul_u32_u24_e32 v0, 28, v0
	v_fma_f64 v[12:13], v[4:5], s[20:21], v[12:13]
	v_fma_f64 v[4:5], v[4:5], s[20:21], v[20:21]
	v_or_b32_e32 v0, v0, v124
	v_lshl_add_u32 v232, v0, 4, v184
	v_lshrrev_b32_e32 v0, 2, v128
	v_mul_u32_u24_e32 v0, 28, v0
	v_or_b32_e32 v0, v0, v125
	v_lshl_add_u32 v233, v0, 4, v184
	v_lshrrev_b16_e32 v0, 2, v215
	v_and_b32_e32 v0, 63, v0
	v_add_f64 v[153:154], v[24:25], -v[14:15]
	v_add_f64 v[157:158], v[14:15], v[24:25]
	v_mul_lo_u16_e32 v185, 37, v0
	v_mov_b32_e32 v24, 28
	v_add_f64 v[145:146], v[18:19], v[8:9]
	v_add_f64 v[147:148], v[10:11], -v[16:17]
	v_mul_lo_u16_sdwa v0, v185, v24 dst_sel:DWORD dst_unused:UNUSED_PAD src0_sel:BYTE_1 src1_sel:DWORD
	v_add_f64 v[151:152], v[2:3], -v[4:5]
	v_sub_u16_e32 v0, v215, v0
	v_add_f64 v[155:156], v[12:13], v[26:27]
	v_and_b32_e32 v186, 0xff, v0
	v_add_f64 v[159:160], v[26:27], -v[12:13]
	v_mad_u64_u32 v[0:1], s[28:29], v186, s26, v[172:173]
	v_add_f64 v[163:164], v[4:5], v[2:3]
	v_add_f64 v[165:166], v[8:9], -v[18:19]
	v_add_f64 v[167:168], v[16:17], v[10:11]
	ds_write_b128 v232, v[112:115]
	ds_write_b128 v232, v[116:119] offset:64
	ds_write_b128 v232, v[120:123] offset:128
	;; [unrolled: 1-line block ×6, first 2 shown]
	ds_write_b128 v233, v[108:111]
	ds_write_b128 v233, v[145:148] offset:64
	ds_write_b128 v233, v[149:152] offset:128
	;; [unrolled: 1-line block ×6, first 2 shown]
	s_waitcnt lgkmcnt(0)
	s_barrier
	ds_read_b128 v[160:163], v214
	ds_read_b128 v[120:123], v214 offset:3136
	ds_read_b128 v[129:132], v214 offset:6272
	;; [unrolled: 1-line block ×13, first 2 shown]
	global_load_dwordx4 v[108:111], v[0:1], off offset:464
	global_load_dwordx4 v[112:115], v[0:1], off offset:448
	global_load_dwordx4 v[116:119], v[0:1], off offset:432
	global_load_dwordx4 v[124:127], v[0:1], off offset:416
	v_lshrrev_b16_e32 v25, 2, v128
	v_and_b32_e32 v25, 63, v25
	v_mul_lo_u16_e32 v187, 37, v25
	v_mul_lo_u16_sdwa v24, v187, v24 dst_sel:DWORD dst_unused:UNUSED_PAD src0_sel:BYTE_1 src1_sel:DWORD
	v_sub_u16_e32 v24, v128, v24
	v_and_b32_e32 v188, 0xff, v24
	v_mad_u64_u32 v[24:25], s[28:29], v188, s26, v[172:173]
	s_waitcnt vmcnt(3) lgkmcnt(9)
	v_mul_f64 v[14:15], v[139:140], v[110:111]
	s_waitcnt vmcnt(2)
	v_mul_f64 v[10:11], v[135:136], v[114:115]
	s_waitcnt vmcnt(1)
	;; [unrolled: 2-line block ×3, first 2 shown]
	v_mul_f64 v[2:3], v[122:123], v[126:127]
	v_mul_f64 v[4:5], v[120:121], v[126:127]
	;; [unrolled: 1-line block ×5, first 2 shown]
	v_fma_f64 v[14:15], v[137:138], v[108:109], -v[14:15]
	v_fma_f64 v[10:11], v[133:134], v[112:113], -v[10:11]
	v_fma_f64 v[8:9], v[131:132], v[116:117], v[8:9]
	v_fma_f64 v[2:3], v[120:121], v[124:125], -v[2:3]
	v_fma_f64 v[4:5], v[122:123], v[124:125], v[4:5]
	v_fma_f64 v[12:13], v[135:136], v[112:113], v[12:13]
	global_load_dwordx4 v[120:123], v[0:1], off offset:496
	global_load_dwordx4 v[132:135], v[0:1], off offset:480
	v_fma_f64 v[6:7], v[129:130], v[116:117], -v[6:7]
	v_fma_f64 v[16:17], v[139:140], v[108:109], v[16:17]
	s_waitcnt vmcnt(1) lgkmcnt(7)
	v_mul_f64 v[20:21], v[147:148], v[122:123]
	s_waitcnt vmcnt(0)
	v_mul_f64 v[18:19], v[141:142], v[134:135]
	v_mul_f64 v[22:23], v[145:146], v[122:123]
	;; [unrolled: 1-line block ×3, first 2 shown]
	v_fma_f64 v[20:21], v[145:146], v[120:121], -v[20:21]
	v_fma_f64 v[18:19], v[143:144], v[132:133], v[18:19]
	v_fma_f64 v[22:23], v[147:148], v[120:121], v[22:23]
	global_load_dwordx4 v[128:131], v[24:25], off offset:464
	global_load_dwordx4 v[136:139], v[24:25], off offset:448
	;; [unrolled: 1-line block ×4, first 2 shown]
	v_fma_f64 v[0:1], v[141:142], v[132:133], -v[0:1]
	s_waitcnt vmcnt(0) lgkmcnt(5)
	v_mul_f64 v[140:141], v[152:153], v[150:151]
	v_mul_f64 v[26:27], v[154:155], v[150:151]
	v_fma_f64 v[205:206], v[154:155], v[148:149], v[140:141]
	s_waitcnt lgkmcnt(4)
	v_mul_f64 v[140:141], v[176:177], v[146:147]
	v_fma_f64 v[26:27], v[152:153], v[148:149], -v[26:27]
	v_fma_f64 v[182:183], v[174:175], v[144:145], -v[140:141]
	v_mul_f64 v[140:141], v[174:175], v[146:147]
	v_fma_f64 v[207:208], v[176:177], v[144:145], v[140:141]
	s_waitcnt lgkmcnt(3)
	v_mul_f64 v[140:141], v[180:181], v[138:139]
	v_fma_f64 v[174:175], v[178:179], v[136:137], -v[140:141]
	v_mul_f64 v[140:141], v[178:179], v[138:139]
	v_fma_f64 v[176:177], v[180:181], v[136:137], v[140:141]
	s_waitcnt lgkmcnt(2)
	v_mul_f64 v[140:141], v[191:192], v[130:131]
	v_fma_f64 v[178:179], v[189:190], v[128:129], -v[140:141]
	v_mul_f64 v[140:141], v[189:190], v[130:131]
	v_fma_f64 v[180:181], v[191:192], v[128:129], v[140:141]
	global_load_dwordx4 v[140:143], v[24:25], off offset:496
	global_load_dwordx4 v[152:155], v[24:25], off offset:480
	s_waitcnt vmcnt(0) lgkmcnt(0)
	s_barrier
	v_mul_f64 v[24:25], v[170:171], v[154:155]
	v_fma_f64 v[24:25], v[168:169], v[152:153], -v[24:25]
	v_mul_f64 v[168:169], v[168:169], v[154:155]
	v_fma_f64 v[209:210], v[170:171], v[152:153], v[168:169]
	v_mul_f64 v[168:169], v[166:167], v[142:143]
	v_fma_f64 v[234:235], v[164:165], v[140:141], -v[168:169]
	v_mul_f64 v[164:165], v[164:165], v[142:143]
	v_fma_f64 v[236:237], v[166:167], v[140:141], v[164:165]
	v_add_f64 v[164:165], v[2:3], v[20:21]
	v_add_f64 v[166:167], v[4:5], v[22:23]
	v_add_f64 v[2:3], v[2:3], -v[20:21]
	v_add_f64 v[4:5], v[4:5], -v[22:23]
	v_add_f64 v[20:21], v[6:7], v[0:1]
	v_add_f64 v[22:23], v[8:9], v[18:19]
	v_add_f64 v[0:1], v[6:7], -v[0:1]
	v_add_f64 v[6:7], v[8:9], -v[18:19]
	;; [unrolled: 4-line block ×4, first 2 shown]
	v_add_f64 v[164:165], v[164:165], -v[8:9]
	v_add_f64 v[166:167], v[166:167], -v[18:19]
	v_add_f64 v[20:21], v[8:9], -v[20:21]
	v_add_f64 v[22:23], v[18:19], -v[22:23]
	v_add_f64 v[189:190], v[10:11], v[0:1]
	v_add_f64 v[191:192], v[12:13], v[6:7]
	v_add_f64 v[193:194], v[10:11], -v[0:1]
	v_add_f64 v[195:196], v[12:13], -v[6:7]
	;; [unrolled: 1-line block ×4, first 2 shown]
	v_add_f64 v[8:9], v[8:9], v[14:15]
	v_add_f64 v[14:15], v[18:19], v[16:17]
	v_add_f64 v[10:11], v[2:3], -v[10:11]
	v_add_f64 v[12:13], v[4:5], -v[12:13]
	v_add_f64 v[2:3], v[189:190], v[2:3]
	v_add_f64 v[4:5], v[191:192], v[4:5]
	v_mul_f64 v[16:17], v[164:165], s[4:5]
	v_mul_f64 v[18:19], v[166:167], s[4:5]
	v_add_f64 v[160:161], v[160:161], v[8:9]
	v_add_f64 v[162:163], v[162:163], v[14:15]
	v_mul_f64 v[164:165], v[20:21], s[2:3]
	v_mul_f64 v[166:167], v[22:23], s[2:3]
	;; [unrolled: 1-line block ×6, first 2 shown]
	v_fma_f64 v[8:9], v[8:9], s[10:11], v[160:161]
	v_fma_f64 v[14:15], v[14:15], s[10:11], v[162:163]
	;; [unrolled: 1-line block ×4, first 2 shown]
	v_fma_f64 v[164:165], v[168:169], s[14:15], -v[164:165]
	v_fma_f64 v[166:167], v[170:171], s[14:15], -v[166:167]
	;; [unrolled: 1-line block ×4, first 2 shown]
	v_fma_f64 v[168:169], v[10:11], s[16:17], v[189:190]
	v_fma_f64 v[170:171], v[12:13], s[16:17], v[191:192]
	v_fma_f64 v[0:1], v[0:1], s[24:25], -v[189:190]
	v_fma_f64 v[6:7], v[6:7], s[24:25], -v[191:192]
	v_fma_f64 v[10:11], v[10:11], s[22:23], v[193:194]
	v_fma_f64 v[12:13], v[12:13], s[22:23], v[195:196]
	v_add_f64 v[20:21], v[20:21], v[8:9]
	v_add_f64 v[22:23], v[22:23], v[14:15]
	;; [unrolled: 1-line block ×6, first 2 shown]
	v_fma_f64 v[16:17], v[2:3], s[20:21], v[168:169]
	v_fma_f64 v[18:19], v[4:5], s[20:21], v[170:171]
	;; [unrolled: 1-line block ×6, first 2 shown]
	v_add_f64 v[10:11], v[207:208], v[209:210]
	v_add_f64 v[12:13], v[182:183], -v[24:25]
	v_add_f64 v[166:167], v[22:23], -v[16:17]
	v_add_f64 v[164:165], v[18:19], v[20:21]
	v_add_f64 v[191:192], v[0:1], v[195:196]
	v_add_f64 v[195:196], v[195:196], -v[0:1]
	v_add_f64 v[170:171], v[14:15], -v[2:3]
	v_add_f64 v[168:169], v[4:5], v[8:9]
	v_add_f64 v[197:198], v[8:9], -v[4:5]
	v_add_f64 v[199:200], v[2:3], v[14:15]
	v_add_f64 v[0:1], v[26:27], v[234:235]
	;; [unrolled: 1-line block ×4, first 2 shown]
	v_add_f64 v[189:190], v[193:194], -v[6:7]
	v_add_f64 v[193:194], v[6:7], v[193:194]
	v_add_f64 v[201:202], v[20:21], -v[18:19]
	v_add_f64 v[203:204], v[16:17], v[22:23]
	v_add_f64 v[4:5], v[26:27], -v[234:235]
	v_add_f64 v[6:7], v[205:206], -v[236:237]
	;; [unrolled: 1-line block ×3, first 2 shown]
	v_add_f64 v[16:17], v[174:175], v[178:179]
	v_add_f64 v[18:19], v[176:177], v[180:181]
	v_add_f64 v[22:23], v[180:181], -v[176:177]
	v_add_f64 v[24:25], v[8:9], v[0:1]
	v_add_f64 v[26:27], v[10:11], v[2:3]
	v_add_f64 v[20:21], v[178:179], -v[174:175]
	v_add_f64 v[174:175], v[8:9], -v[0:1]
	v_add_f64 v[176:177], v[10:11], -v[2:3]
	v_add_f64 v[0:1], v[0:1], -v[16:17]
	v_add_f64 v[2:3], v[2:3], -v[18:19]
	v_add_f64 v[8:9], v[16:17], -v[8:9]
	v_add_f64 v[10:11], v[18:19], -v[10:11]
	v_add_f64 v[180:181], v[22:23], v[14:15]
	v_add_f64 v[205:206], v[22:23], -v[14:15]
	v_add_f64 v[14:15], v[14:15], -v[6:7]
	v_add_f64 v[16:17], v[16:17], v[24:25]
	v_add_f64 v[18:19], v[18:19], v[26:27]
	;; [unrolled: 1-line block ×3, first 2 shown]
	v_add_f64 v[182:183], v[20:21], -v[12:13]
	v_add_f64 v[12:13], v[12:13], -v[4:5]
	;; [unrolled: 1-line block ×3, first 2 shown]
	v_add_f64 v[6:7], v[180:181], v[6:7]
	v_mul_f64 v[0:1], v[0:1], s[4:5]
	v_add_f64 v[156:157], v[156:157], v[16:17]
	v_add_f64 v[158:159], v[158:159], v[18:19]
	v_mul_f64 v[2:3], v[2:3], s[4:5]
	v_mul_f64 v[26:27], v[10:11], s[2:3]
	;; [unrolled: 1-line block ×4, first 2 shown]
	v_add_f64 v[20:21], v[4:5], -v[20:21]
	v_add_f64 v[4:5], v[178:179], v[4:5]
	v_mul_f64 v[24:25], v[8:9], s[2:3]
	v_mul_f64 v[178:179], v[182:183], s[8:9]
	v_mul_f64 v[182:183], v[12:13], s[6:7]
	v_fma_f64 v[16:17], v[16:17], s[10:11], v[156:157]
	v_fma_f64 v[18:19], v[18:19], s[10:11], v[158:159]
	;; [unrolled: 1-line block ×4, first 2 shown]
	v_fma_f64 v[26:27], v[176:177], s[14:15], -v[26:27]
	v_fma_f64 v[0:1], v[174:175], s[18:19], -v[0:1]
	;; [unrolled: 1-line block ×3, first 2 shown]
	v_fma_f64 v[176:177], v[22:23], s[16:17], v[180:181]
	v_fma_f64 v[14:15], v[14:15], s[24:25], -v[180:181]
	v_fma_f64 v[22:23], v[22:23], s[22:23], v[205:206]
	v_fma_f64 v[24:25], v[174:175], s[14:15], -v[24:25]
	;; [unrolled: 2-line block ×3, first 2 shown]
	v_fma_f64 v[20:21], v[20:21], s[22:23], v[182:183]
	v_add_f64 v[10:11], v[10:11], v[18:19]
	v_add_f64 v[26:27], v[26:27], v[18:19]
	;; [unrolled: 1-line block ×4, first 2 shown]
	v_fma_f64 v[18:19], v[6:7], s[20:21], v[176:177]
	v_fma_f64 v[14:15], v[6:7], s[20:21], v[14:15]
	v_fma_f64 v[6:7], v[6:7], s[20:21], v[22:23]
	v_add_f64 v[8:9], v[8:9], v[16:17]
	v_add_f64 v[24:25], v[24:25], v[16:17]
	v_fma_f64 v[16:17], v[4:5], s[20:21], v[174:175]
	v_fma_f64 v[12:13], v[4:5], s[20:21], v[12:13]
	v_fma_f64 v[4:5], v[4:5], s[20:21], v[20:21]
	v_add_f64 v[178:179], v[6:7], v[0:1]
	v_add_f64 v[240:241], v[0:1], -v[6:7]
	v_mul_u32_u24_sdwa v0, v185, s27 dst_sel:DWORD dst_unused:UNUSED_PAD src0_sel:BYTE_1 src1_sel:DWORD
	v_add_f64 v[174:175], v[18:19], v[8:9]
	v_add_f64 v[176:177], v[10:11], -v[16:17]
	v_add_u32_e32 v0, v0, v186
	v_add_f64 v[180:181], v[2:3], -v[4:5]
	v_lshl_add_u32 v234, v0, 4, v184
	v_mul_u32_u24_sdwa v0, v187, s27 dst_sel:DWORD dst_unused:UNUSED_PAD src0_sel:BYTE_1 src1_sel:DWORD
	v_add_f64 v[205:206], v[24:25], -v[14:15]
	v_add_f64 v[207:208], v[12:13], v[26:27]
	v_add_u32_e32 v0, v0, v188
	v_add_f64 v[236:237], v[14:15], v[24:25]
	v_add_f64 v[238:239], v[26:27], -v[12:13]
	v_lshl_add_u32 v235, v0, 4, v184
	v_mad_u64_u32 v[0:1], s[26:27], v215, s26, v[172:173]
	v_add_f64 v[242:243], v[4:5], v[2:3]
	v_add_f64 v[244:245], v[8:9], -v[18:19]
	v_add_f64 v[246:247], v[16:17], v[10:11]
	ds_write_b128 v234, v[160:163]
	ds_write_b128 v234, v[164:167] offset:448
	ds_write_b128 v234, v[168:171] offset:896
	;; [unrolled: 1-line block ×6, first 2 shown]
	ds_write_b128 v235, v[156:159]
	ds_write_b128 v235, v[174:177] offset:448
	ds_write_b128 v235, v[178:181] offset:896
	;; [unrolled: 1-line block ×6, first 2 shown]
	s_waitcnt lgkmcnt(0)
	s_barrier
	ds_read_b128 v[208:211], v214
	ds_read_b128 v[164:167], v214 offset:3136
	ds_read_b128 v[176:179], v214 offset:6272
	;; [unrolled: 1-line block ×13, first 2 shown]
	global_load_dwordx4 v[156:159], v[0:1], off offset:3152
	global_load_dwordx4 v[160:163], v[0:1], off offset:3136
	;; [unrolled: 1-line block ×4, first 2 shown]
	s_movk_i32 s26, 0x24c0
	s_waitcnt vmcnt(3) lgkmcnt(9)
	v_mul_f64 v[14:15], v[186:187], v[158:159]
	s_waitcnt vmcnt(2)
	v_mul_f64 v[10:11], v[182:183], v[162:163]
	s_waitcnt vmcnt(1)
	;; [unrolled: 2-line block ×3, first 2 shown]
	v_mul_f64 v[2:3], v[166:167], v[174:175]
	v_mul_f64 v[4:5], v[164:165], v[174:175]
	;; [unrolled: 1-line block ×5, first 2 shown]
	v_fma_f64 v[14:15], v[184:185], v[156:157], -v[14:15]
	v_fma_f64 v[10:11], v[180:181], v[160:161], -v[10:11]
	;; [unrolled: 1-line block ×4, first 2 shown]
	v_fma_f64 v[4:5], v[166:167], v[172:173], v[4:5]
	v_fma_f64 v[8:9], v[178:179], v[168:169], v[8:9]
	global_load_dwordx4 v[164:167], v[0:1], off offset:3184
	global_load_dwordx4 v[176:179], v[0:1], off offset:3168
	v_add_co_u32_e32 v0, vcc, s26, v0
	v_addc_co_u32_e32 v1, vcc, 0, v1, vcc
	v_fma_f64 v[12:13], v[182:183], v[160:161], v[12:13]
	v_fma_f64 v[16:17], v[186:187], v[156:157], v[16:17]
	s_waitcnt vmcnt(1) lgkmcnt(7)
	v_mul_f64 v[22:23], v[194:195], v[166:167]
	s_waitcnt vmcnt(0)
	v_mul_f64 v[18:19], v[190:191], v[178:179]
	v_mul_f64 v[20:21], v[188:189], v[178:179]
	;; [unrolled: 1-line block ×3, first 2 shown]
	v_fma_f64 v[22:23], v[192:193], v[164:165], -v[22:23]
	v_fma_f64 v[18:19], v[188:189], v[176:177], -v[18:19]
	v_fma_f64 v[20:21], v[190:191], v[176:177], v[20:21]
	v_fma_f64 v[24:25], v[194:195], v[164:165], v[24:25]
	global_load_dwordx4 v[180:183], v[0:1], off offset:3152
	global_load_dwordx4 v[184:187], v[0:1], off offset:3136
	;; [unrolled: 1-line block ×4, first 2 shown]
	v_add_f64 v[50:51], v[4:5], v[24:25]
	v_add_f64 v[4:5], v[4:5], -v[24:25]
	v_add_f64 v[24:25], v[8:9], v[20:21]
	v_add_f64 v[8:9], v[8:9], -v[20:21]
	;; [unrolled: 2-line block ×3, first 2 shown]
	v_add_f64 v[16:17], v[24:25], v[50:51]
	v_add_f64 v[16:17], v[20:21], v[16:17]
	;; [unrolled: 1-line block ×3, first 2 shown]
	v_fma_f64 v[16:17], v[16:17], s[10:11], v[210:211]
	s_waitcnt vmcnt(0) lgkmcnt(5)
	v_mul_f64 v[26:27], v[198:199], v[194:195]
	v_fma_f64 v[40:41], v[196:197], v[192:193], -v[26:27]
	v_mul_f64 v[26:27], v[196:197], v[194:195]
	v_fma_f64 v[34:35], v[198:199], v[192:193], v[26:27]
	s_waitcnt lgkmcnt(4)
	v_mul_f64 v[26:27], v[202:203], v[190:191]
	v_fma_f64 v[44:45], v[200:201], v[188:189], -v[26:27]
	v_mul_f64 v[26:27], v[200:201], v[190:191]
	v_fma_f64 v[38:39], v[202:203], v[188:189], v[26:27]
	global_load_dwordx4 v[196:199], v[0:1], off offset:3184
	global_load_dwordx4 v[200:203], v[0:1], off offset:3168
	s_waitcnt lgkmcnt(3)
	v_mul_f64 v[26:27], v[238:239], v[186:187]
	v_fma_f64 v[52:53], v[236:237], v[184:185], -v[26:27]
	v_mul_f64 v[26:27], v[236:237], v[186:187]
	v_fma_f64 v[48:49], v[238:239], v[184:185], v[26:27]
	s_waitcnt lgkmcnt(2)
	v_mul_f64 v[26:27], v[242:243], v[182:183]
	v_add_f64 v[238:239], v[24:25], -v[50:51]
	v_add_f64 v[50:51], v[50:51], -v[20:21]
	;; [unrolled: 1-line block ×3, first 2 shown]
	v_fma_f64 v[36:37], v[240:241], v[180:181], -v[26:27]
	v_mul_f64 v[26:27], v[240:241], v[182:183]
	v_mul_f64 v[20:21], v[50:51], s[4:5]
	;; [unrolled: 1-line block ×3, first 2 shown]
	v_fma_f64 v[42:43], v[242:243], v[180:181], v[26:27]
	v_add_f64 v[242:243], v[12:13], v[8:9]
	v_fma_f64 v[24:25], v[24:25], s[2:3], v[20:21]
	v_fma_f64 v[50:51], v[238:239], s[14:15], -v[50:51]
	v_fma_f64 v[20:21], v[238:239], s[18:19], -v[20:21]
	s_waitcnt vmcnt(0) lgkmcnt(1)
	v_mul_f64 v[26:27], v[244:245], v[202:203]
	v_mul_f64 v[0:1], v[246:247], v[202:203]
	v_fma_f64 v[30:31], v[246:247], v[200:201], v[26:27]
	s_waitcnt lgkmcnt(0)
	v_mul_f64 v[26:27], v[250:251], v[198:199]
	v_fma_f64 v[32:33], v[244:245], v[200:201], -v[0:1]
	v_add_f64 v[246:247], v[12:13], -v[8:9]
	v_add_f64 v[12:13], v[4:5], -v[12:13]
	;; [unrolled: 1-line block ×3, first 2 shown]
	v_add_f64 v[4:5], v[242:243], v[4:5]
	v_add_f64 v[0:1], v[24:25], v[16:17]
	v_fma_f64 v[46:47], v[248:249], v[196:197], -v[26:27]
	v_mul_f64 v[26:27], v[248:249], v[198:199]
	v_mul_f64 v[242:243], v[246:247], s[8:9]
	;; [unrolled: 1-line block ×3, first 2 shown]
	v_fma_f64 v[28:29], v[250:251], v[196:197], v[26:27]
	v_add_f64 v[26:27], v[2:3], v[22:23]
	v_add_f64 v[2:3], v[2:3], -v[22:23]
	v_add_f64 v[22:23], v[6:7], v[18:19]
	v_add_f64 v[6:7], v[6:7], -v[18:19]
	v_add_f64 v[18:19], v[10:11], v[14:15]
	v_add_f64 v[10:11], v[14:15], -v[10:11]
	v_fma_f64 v[8:9], v[8:9], s[24:25], -v[242:243]
	v_fma_f64 v[238:239], v[12:13], s[16:17], v[242:243]
	v_fma_f64 v[12:13], v[12:13], s[22:23], v[246:247]
	v_add_f64 v[14:15], v[22:23], v[26:27]
	v_add_f64 v[236:237], v[22:23], -v[26:27]
	v_add_f64 v[26:27], v[26:27], -v[18:19]
	v_add_f64 v[22:23], v[18:19], -v[22:23]
	v_add_f64 v[240:241], v[10:11], v[6:7]
	v_add_f64 v[244:245], v[10:11], -v[6:7]
	v_add_f64 v[6:7], v[6:7], -v[2:3]
	;; [unrolled: 1-line block ×3, first 2 shown]
	v_add_f64 v[14:15], v[18:19], v[14:15]
	v_fma_f64 v[8:9], v[4:5], s[20:21], v[8:9]
	v_mul_f64 v[18:19], v[26:27], s[4:5]
	v_mul_f64 v[26:27], v[22:23], s[2:3]
	v_add_f64 v[2:3], v[240:241], v[2:3]
	v_mul_f64 v[240:241], v[244:245], s[8:9]
	v_mul_f64 v[244:245], v[6:7], s[6:7]
	v_add_f64 v[208:209], v[208:209], v[14:15]
	v_fma_f64 v[22:23], v[22:23], s[2:3], v[18:19]
	v_fma_f64 v[26:27], v[236:237], s[14:15], -v[26:27]
	v_fma_f64 v[18:19], v[236:237], s[18:19], -v[18:19]
	v_fma_f64 v[236:237], v[10:11], s[16:17], v[240:241]
	v_fma_f64 v[6:7], v[6:7], s[24:25], -v[240:241]
	v_fma_f64 v[10:11], v[10:11], s[22:23], v[244:245]
	v_fma_f64 v[14:15], v[14:15], s[10:11], v[208:209]
	;; [unrolled: 1-line block ×3, first 2 shown]
	v_add_f64 v[22:23], v[22:23], v[14:15]
	v_add_f64 v[24:25], v[26:27], v[14:15]
	;; [unrolled: 1-line block ×5, first 2 shown]
	v_fma_f64 v[18:19], v[2:3], s[20:21], v[236:237]
	v_fma_f64 v[2:3], v[2:3], s[20:21], v[10:11]
	;; [unrolled: 1-line block ×4, first 2 shown]
	v_add_f64 v[244:245], v[24:25], -v[8:9]
	v_add_f64 v[246:247], v[6:7], v[26:27]
	v_add_f64 v[248:249], v[8:9], v[24:25]
	v_add_f64 v[250:251], v[26:27], -v[6:7]
	v_add_f64 v[238:239], v[0:1], -v[18:19]
	;; [unrolled: 1-line block ×3, first 2 shown]
	v_add_f64 v[254:255], v[2:3], v[16:17]
	v_add_f64 v[26:27], v[18:19], v[0:1]
	;; [unrolled: 1-line block ×8, first 2 shown]
	v_add_f64 v[252:253], v[14:15], -v[4:5]
	v_add_f64 v[24:25], v[22:23], -v[20:21]
	v_add_f64 v[6:7], v[34:35], -v[28:29]
	v_add_f64 v[14:15], v[38:39], -v[30:31]
	v_add_f64 v[16:17], v[52:53], v[36:37]
	v_add_f64 v[18:19], v[48:49], v[42:43]
	v_add_f64 v[22:23], v[42:43], -v[48:49]
	v_add_f64 v[28:29], v[8:9], v[0:1]
	v_add_f64 v[30:31], v[10:11], v[2:3]
	v_add_f64 v[4:5], v[40:41], -v[46:47]
	v_add_f64 v[12:13], v[44:45], -v[32:33]
	v_add_f64 v[20:21], v[36:37], -v[52:53]
	v_add_f64 v[32:33], v[8:9], -v[0:1]
	v_add_f64 v[34:35], v[10:11], -v[2:3]
	v_add_f64 v[0:1], v[0:1], -v[16:17]
	v_add_f64 v[2:3], v[2:3], -v[18:19]
	v_add_f64 v[8:9], v[16:17], -v[8:9]
	v_add_f64 v[10:11], v[18:19], -v[10:11]
	v_add_f64 v[38:39], v[22:23], v[14:15]
	v_add_f64 v[42:43], v[22:23], -v[14:15]
	v_add_f64 v[16:17], v[16:17], v[28:29]
	v_add_f64 v[18:19], v[18:19], v[30:31]
	;; [unrolled: 1-line block ×3, first 2 shown]
	v_add_f64 v[40:41], v[20:21], -v[12:13]
	v_add_f64 v[12:13], v[12:13], -v[4:5]
	;; [unrolled: 1-line block ×4, first 2 shown]
	v_add_f64 v[6:7], v[38:39], v[6:7]
	v_add_f64 v[204:205], v[204:205], v[16:17]
	;; [unrolled: 1-line block ×3, first 2 shown]
	v_mul_f64 v[0:1], v[0:1], s[4:5]
	v_mul_f64 v[2:3], v[2:3], s[4:5]
	;; [unrolled: 1-line block ×5, first 2 shown]
	v_add_f64 v[20:21], v[4:5], -v[20:21]
	v_add_f64 v[4:5], v[36:37], v[4:5]
	v_mul_f64 v[36:37], v[40:41], s[8:9]
	v_mul_f64 v[40:41], v[12:13], s[6:7]
	;; [unrolled: 1-line block ×3, first 2 shown]
	v_fma_f64 v[16:17], v[16:17], s[10:11], v[204:205]
	v_fma_f64 v[18:19], v[18:19], s[10:11], v[206:207]
	;; [unrolled: 1-line block ×4, first 2 shown]
	v_fma_f64 v[28:29], v[32:33], s[14:15], -v[28:29]
	v_fma_f64 v[30:31], v[34:35], s[14:15], -v[30:31]
	v_fma_f64 v[2:3], v[34:35], s[18:19], -v[2:3]
	v_fma_f64 v[34:35], v[22:23], s[16:17], v[38:39]
	v_fma_f64 v[14:15], v[14:15], s[24:25], -v[38:39]
	v_fma_f64 v[0:1], v[32:33], s[18:19], -v[0:1]
	v_fma_f64 v[32:33], v[20:21], s[16:17], v[36:37]
	v_fma_f64 v[12:13], v[12:13], s[24:25], -v[36:37]
	v_fma_f64 v[20:21], v[20:21], s[22:23], v[40:41]
	v_fma_f64 v[22:23], v[22:23], s[22:23], v[42:43]
	v_add_f64 v[36:37], v[8:9], v[16:17]
	v_add_f64 v[38:39], v[10:11], v[18:19]
	;; [unrolled: 1-line block ×4, first 2 shown]
	v_fma_f64 v[30:31], v[6:7], s[20:21], v[34:35]
	v_fma_f64 v[34:35], v[6:7], s[20:21], v[14:15]
	v_add_f64 v[0:1], v[0:1], v[16:17]
	v_add_f64 v[2:3], v[2:3], v[18:19]
	v_fma_f64 v[28:29], v[4:5], s[20:21], v[32:33]
	v_fma_f64 v[32:33], v[4:5], s[20:21], v[12:13]
	;; [unrolled: 1-line block ×4, first 2 shown]
	s_movk_i32 s9, 0x55c0
	v_add_f64 v[12:13], v[8:9], -v[34:35]
	v_add_f64 v[16:17], v[30:31], v[36:37]
	v_add_f64 v[8:9], v[34:35], v[8:9]
	v_add_f64 v[18:19], v[38:39], -v[28:29]
	v_add_f64 v[14:15], v[32:33], v[10:11]
	v_add_f64 v[22:23], v[2:3], -v[40:41]
	;; [unrolled: 2-line block ×3, first 2 shown]
	v_add_f64 v[4:5], v[0:1], -v[4:5]
	v_add_f64 v[6:7], v[40:41], v[2:3]
	v_add_f64 v[0:1], v[36:37], -v[30:31]
	v_add_f64 v[2:3], v[28:29], v[38:39]
	ds_write_b128 v214, v[208:211]
	ds_write_b128 v214, v[236:239] offset:3136
	ds_write_b128 v214, v[240:243] offset:6272
	;; [unrolled: 1-line block ×13, first 2 shown]
	v_add_co_u32_e32 v12, vcc, s9, v216
	v_addc_co_u32_e32 v13, vcc, 0, v217, vcc
	s_movk_i32 s9, 0x5000
	v_add_co_u32_e32 v4, vcc, s9, v216
	v_addc_co_u32_e32 v5, vcc, 0, v217, vcc
	s_waitcnt lgkmcnt(0)
	s_barrier
	global_load_dwordx4 v[4:7], v[4:5], off offset:1472
	ds_read_b128 v[0:3], v214
	s_mov_b32 s9, 0x8000
	v_add_co_u32_e32 v14, vcc, s9, v216
	v_addc_co_u32_e32 v15, vcc, 0, v217, vcc
	s_movk_i32 s9, 0x6000
	s_mov_b32 s21, 0xbfdc38aa
	s_waitcnt vmcnt(0) lgkmcnt(0)
	v_mul_f64 v[8:9], v[2:3], v[6:7]
	v_fma_f64 v[8:9], v[0:1], v[4:5], -v[8:9]
	v_mul_f64 v[0:1], v[0:1], v[6:7]
	v_fma_f64 v[10:11], v[2:3], v[4:5], v[0:1]
	global_load_dwordx4 v[4:7], v[14:15], off offset:160
	ds_read_b128 v[0:3], v214 offset:10976
	ds_write_b128 v214, v[8:11]
	s_waitcnt vmcnt(0) lgkmcnt(1)
	v_mul_f64 v[8:9], v[2:3], v[6:7]
	v_fma_f64 v[8:9], v[0:1], v[4:5], -v[8:9]
	v_mul_f64 v[0:1], v[0:1], v[6:7]
	v_fma_f64 v[10:11], v[2:3], v[4:5], v[0:1]
	global_load_dwordx4 v[4:7], v[12:13], off offset:1568
	ds_read_b128 v[0:3], v214 offset:1568
	ds_write_b128 v214, v[8:11] offset:10976
	s_waitcnt vmcnt(0) lgkmcnt(1)
	v_mul_f64 v[8:9], v[2:3], v[6:7]
	v_fma_f64 v[8:9], v[0:1], v[4:5], -v[8:9]
	v_mul_f64 v[0:1], v[0:1], v[6:7]
	v_fma_f64 v[10:11], v[2:3], v[4:5], v[0:1]
	global_load_dwordx4 v[4:7], v[14:15], off offset:1728
	ds_read_b128 v[0:3], v214 offset:12544
	ds_write_b128 v214, v[8:11] offset:1568
	s_waitcnt vmcnt(0) lgkmcnt(1)
	v_mul_f64 v[8:9], v[2:3], v[6:7]
	v_fma_f64 v[8:9], v[0:1], v[4:5], -v[8:9]
	v_mul_f64 v[0:1], v[0:1], v[6:7]
	v_fma_f64 v[10:11], v[2:3], v[4:5], v[0:1]
	global_load_dwordx4 v[4:7], v[12:13], off offset:3136
	ds_read_b128 v[0:3], v214 offset:3136
	v_add_co_u32_e32 v12, vcc, s9, v216
	v_addc_co_u32_e32 v13, vcc, 0, v217, vcc
	s_mov_b32 s9, 0x9000
	ds_write_b128 v214, v[8:11] offset:12544
	s_waitcnt vmcnt(0) lgkmcnt(1)
	v_mul_f64 v[8:9], v[2:3], v[6:7]
	v_fma_f64 v[8:9], v[0:1], v[4:5], -v[8:9]
	v_mul_f64 v[0:1], v[0:1], v[6:7]
	v_fma_f64 v[10:11], v[2:3], v[4:5], v[0:1]
	global_load_dwordx4 v[4:7], v[14:15], off offset:3296
	ds_read_b128 v[0:3], v214 offset:14112
	v_add_co_u32_e32 v14, vcc, s9, v216
	v_addc_co_u32_e32 v15, vcc, 0, v217, vcc
	s_movk_i32 s9, 0x7000
	ds_write_b128 v214, v[8:11] offset:3136
	s_waitcnt vmcnt(0) lgkmcnt(1)
	v_mul_f64 v[8:9], v[2:3], v[6:7]
	v_fma_f64 v[8:9], v[0:1], v[4:5], -v[8:9]
	v_mul_f64 v[0:1], v[0:1], v[6:7]
	v_fma_f64 v[10:11], v[2:3], v[4:5], v[0:1]
	global_load_dwordx4 v[4:7], v[12:13], off offset:2080
	ds_read_b128 v[0:3], v214 offset:4704
	ds_write_b128 v214, v[8:11] offset:14112
	s_waitcnt vmcnt(0) lgkmcnt(1)
	v_mul_f64 v[8:9], v[2:3], v[6:7]
	v_fma_f64 v[8:9], v[0:1], v[4:5], -v[8:9]
	v_mul_f64 v[0:1], v[0:1], v[6:7]
	v_fma_f64 v[10:11], v[2:3], v[4:5], v[0:1]
	global_load_dwordx4 v[4:7], v[14:15], off offset:768
	ds_read_b128 v[0:3], v214 offset:15680
	;; [unrolled: 8-line block ×3, first 2 shown]
	v_add_co_u32_e32 v12, vcc, s9, v216
	v_addc_co_u32_e32 v13, vcc, 0, v217, vcc
	s_mov_b32 s9, 0xa000
	ds_write_b128 v214, v[8:11] offset:15680
	s_waitcnt vmcnt(0) lgkmcnt(1)
	v_mul_f64 v[8:9], v[2:3], v[6:7]
	v_fma_f64 v[8:9], v[0:1], v[4:5], -v[8:9]
	v_mul_f64 v[0:1], v[0:1], v[6:7]
	v_fma_f64 v[10:11], v[2:3], v[4:5], v[0:1]
	global_load_dwordx4 v[4:7], v[14:15], off offset:2336
	ds_read_b128 v[0:3], v214 offset:17248
	ds_write_b128 v214, v[8:11] offset:6272
	s_waitcnt vmcnt(0) lgkmcnt(1)
	v_mul_f64 v[8:9], v[2:3], v[6:7]
	v_fma_f64 v[8:9], v[0:1], v[4:5], -v[8:9]
	v_mul_f64 v[0:1], v[0:1], v[6:7]
	v_fma_f64 v[10:11], v[2:3], v[4:5], v[0:1]
	global_load_dwordx4 v[4:7], v[12:13], off offset:1120
	ds_read_b128 v[0:3], v214 offset:7840
	;; [unrolled: 8-line block ×4, first 2 shown]
	ds_write_b128 v214, v[8:11] offset:18816
	s_waitcnt vmcnt(0) lgkmcnt(1)
	v_mul_f64 v[8:9], v[2:3], v[6:7]
	v_fma_f64 v[8:9], v[0:1], v[4:5], -v[8:9]
	v_mul_f64 v[0:1], v[0:1], v[6:7]
	v_fma_f64 v[10:11], v[2:3], v[4:5], v[0:1]
	v_add_co_u32_e32 v4, vcc, s9, v216
	v_addc_co_u32_e32 v5, vcc, 0, v217, vcc
	global_load_dwordx4 v[4:7], v[4:5], off offset:1376
	ds_read_b128 v[0:3], v214 offset:20384
	s_mov_b32 s9, 0x3fe11646
	ds_write_b128 v214, v[8:11] offset:9408
	s_waitcnt vmcnt(0) lgkmcnt(1)
	v_mul_f64 v[8:9], v[2:3], v[6:7]
	v_fma_f64 v[8:9], v[0:1], v[4:5], -v[8:9]
	v_mul_f64 v[0:1], v[0:1], v[6:7]
	v_fma_f64 v[10:11], v[2:3], v[4:5], v[0:1]
	ds_write_b128 v214, v[8:11] offset:20384
	s_waitcnt lgkmcnt(0)
	s_barrier
	ds_read_b128 v[0:3], v214
	ds_read_b128 v[4:7], v214 offset:10976
	ds_read_b128 v[8:11], v214 offset:1568
	;; [unrolled: 1-line block ×13, first 2 shown]
	s_waitcnt lgkmcnt(12)
	v_add_f64 v[4:5], v[0:1], -v[4:5]
	v_add_f64 v[6:7], v[2:3], -v[6:7]
	s_waitcnt lgkmcnt(0)
	s_barrier
	v_add_f64 v[12:13], v[8:9], -v[12:13]
	v_add_f64 v[14:15], v[10:11], -v[14:15]
	;; [unrolled: 1-line block ×3, first 2 shown]
	v_fma_f64 v[0:1], v[0:1], 2.0, -v[4:5]
	v_fma_f64 v[2:3], v[2:3], 2.0, -v[6:7]
	ds_write_b128 v231, v[0:3]
	ds_write_b128 v231, v[4:7] offset:16
	buffer_load_dword v0, off, s[36:39], 0 offset:212 ; 4-byte Folded Reload
	v_fma_f64 v[8:9], v[8:9], 2.0, -v[12:13]
	v_fma_f64 v[10:11], v[10:11], 2.0, -v[14:15]
	s_waitcnt vmcnt(0)
	ds_write_b128 v0, v[8:11]
	ds_write_b128 v0, v[12:15] offset:16
	buffer_load_dword v0, off, s[36:39], 0 offset:204 ; 4-byte Folded Reload
	v_add_f64 v[22:23], v[18:19], -v[22:23]
	v_fma_f64 v[16:17], v[16:17], 2.0, -v[20:21]
	v_add_f64 v[204:205], v[24:25], -v[204:205]
	v_add_f64 v[206:207], v[26:27], -v[206:207]
	;; [unrolled: 1-line block ×6, first 2 shown]
	v_fma_f64 v[18:19], v[18:19], 2.0, -v[22:23]
	s_waitcnt vmcnt(0)
	ds_write_b128 v0, v[16:19]
	ds_write_b128 v0, v[20:23] offset:16
	buffer_load_dword v0, off, s[36:39], 0 offset:200 ; 4-byte Folded Reload
	v_fma_f64 v[24:25], v[24:25], 2.0, -v[204:205]
	v_fma_f64 v[26:27], v[26:27], 2.0, -v[206:207]
	s_waitcnt vmcnt(0)
	ds_write_b128 v0, v[24:27]
	ds_write_b128 v0, v[204:207] offset:16
	buffer_load_dword v0, off, s[36:39], 0 offset:180 ; 4-byte Folded Reload
	v_fma_f64 v[208:209], v[208:209], 2.0, -v[236:237]
	;; [unrolled: 6-line block ×3, first 2 shown]
	v_fma_f64 v[242:243], v[242:243], 2.0, -v[246:247]
	s_waitcnt vmcnt(0)
	ds_write_b128 v0, v[240:243]
	ds_write_b128 v0, v[244:247] offset:16
	buffer_load_dword v0, off, s[36:39], 0 offset:192 ; 4-byte Folded Reload
	v_add_f64 v[252:253], v[248:249], -v[252:253]
	v_add_f64 v[254:255], v[250:251], -v[254:255]
	v_fma_f64 v[248:249], v[248:249], 2.0, -v[252:253]
	v_fma_f64 v[250:251], v[250:251], 2.0, -v[254:255]
	s_waitcnt vmcnt(0)
	ds_write_b128 v0, v[248:251]
	ds_write_b128 v0, v[252:255] offset:16
	s_waitcnt lgkmcnt(0)
	s_barrier
	ds_read_b128 v[0:3], v214
	ds_read_b128 v[4:7], v214 offset:10976
	ds_read_b128 v[8:11], v214 offset:1568
	;; [unrolled: 1-line block ×13, first 2 shown]
	s_waitcnt lgkmcnt(12)
	v_mul_f64 v[28:29], v[58:59], v[6:7]
	s_waitcnt lgkmcnt(0)
	s_barrier
	v_fma_f64 v[28:29], v[56:57], v[4:5], v[28:29]
	v_mul_f64 v[4:5], v[58:59], v[4:5]
	v_fma_f64 v[6:7], v[56:57], v[6:7], -v[4:5]
	v_mul_f64 v[4:5], v[58:59], v[14:15]
	v_add_f64 v[6:7], v[2:3], -v[6:7]
	v_fma_f64 v[30:31], v[56:57], v[12:13], v[4:5]
	v_mul_f64 v[4:5], v[58:59], v[12:13]
	v_fma_f64 v[2:3], v[2:3], 2.0, -v[6:7]
	v_add_f64 v[12:13], v[8:9], -v[30:31]
	v_fma_f64 v[14:15], v[56:57], v[14:15], -v[4:5]
	v_mul_f64 v[4:5], v[58:59], v[22:23]
	v_fma_f64 v[8:9], v[8:9], 2.0, -v[12:13]
	v_add_f64 v[14:15], v[10:11], -v[14:15]
	v_fma_f64 v[32:33], v[56:57], v[20:21], v[4:5]
	v_mul_f64 v[4:5], v[58:59], v[20:21]
	v_fma_f64 v[10:11], v[10:11], 2.0, -v[14:15]
	v_add_f64 v[20:21], v[16:17], -v[32:33]
	v_fma_f64 v[22:23], v[56:57], v[22:23], -v[4:5]
	v_mul_f64 v[4:5], v[58:59], v[206:207]
	v_fma_f64 v[16:17], v[16:17], 2.0, -v[20:21]
	v_add_f64 v[22:23], v[18:19], -v[22:23]
	v_fma_f64 v[34:35], v[56:57], v[204:205], v[4:5]
	v_mul_f64 v[4:5], v[58:59], v[204:205]
	v_fma_f64 v[18:19], v[18:19], 2.0, -v[22:23]
	v_fma_f64 v[36:37], v[56:57], v[206:207], -v[4:5]
	v_mul_f64 v[4:5], v[58:59], v[238:239]
	v_fma_f64 v[38:39], v[56:57], v[236:237], v[4:5]
	v_mul_f64 v[4:5], v[58:59], v[236:237]
	v_add_f64 v[204:205], v[208:209], -v[38:39]
	v_fma_f64 v[40:41], v[56:57], v[238:239], -v[4:5]
	v_mul_f64 v[4:5], v[58:59], v[246:247]
	v_fma_f64 v[208:209], v[208:209], 2.0, -v[204:205]
	v_add_f64 v[206:207], v[210:211], -v[40:41]
	v_fma_f64 v[42:43], v[56:57], v[244:245], v[4:5]
	v_mul_f64 v[4:5], v[58:59], v[244:245]
	v_fma_f64 v[210:211], v[210:211], 2.0, -v[206:207]
	v_add_f64 v[236:237], v[240:241], -v[42:43]
	v_fma_f64 v[44:45], v[56:57], v[246:247], -v[4:5]
	v_mul_f64 v[4:5], v[58:59], v[254:255]
	v_fma_f64 v[240:241], v[240:241], 2.0, -v[236:237]
	v_add_f64 v[238:239], v[242:243], -v[44:45]
	v_fma_f64 v[46:47], v[56:57], v[252:253], v[4:5]
	v_mul_f64 v[4:5], v[58:59], v[252:253]
	v_add_f64 v[58:59], v[26:27], -v[36:37]
	v_fma_f64 v[242:243], v[242:243], 2.0, -v[238:239]
	v_add_f64 v[244:245], v[248:249], -v[46:47]
	v_fma_f64 v[48:49], v[56:57], v[254:255], -v[4:5]
	v_add_f64 v[4:5], v[0:1], -v[28:29]
	v_add_f64 v[56:57], v[24:25], -v[34:35]
	v_fma_f64 v[26:27], v[26:27], 2.0, -v[58:59]
	v_fma_f64 v[248:249], v[248:249], 2.0, -v[244:245]
	v_add_f64 v[246:247], v[250:251], -v[48:49]
	v_fma_f64 v[0:1], v[0:1], 2.0, -v[4:5]
	ds_write_b128 v230, v[0:3]
	ds_write_b128 v230, v[4:7] offset:32
	buffer_load_dword v0, off, s[36:39], 0 offset:208 ; 4-byte Folded Reload
	s_waitcnt vmcnt(0)
	ds_write_b128 v0, v[8:11]
	ds_write_b128 v0, v[12:15] offset:32
	buffer_load_dword v0, off, s[36:39], 0 offset:196 ; 4-byte Folded Reload
	v_fma_f64 v[24:25], v[24:25], 2.0, -v[56:57]
	s_waitcnt vmcnt(0)
	ds_write_b128 v0, v[16:19]
	ds_write_b128 v0, v[20:23] offset:32
	ds_write_b128 v54, v[24:27]
	ds_write_b128 v54, v[56:59] offset:32
	;; [unrolled: 2-line block ×3, first 2 shown]
	buffer_load_dword v0, off, s[36:39], 0 offset:176 ; 4-byte Folded Reload
	s_waitcnt vmcnt(0)
	ds_write_b128 v0, v[240:243]
	ds_write_b128 v0, v[236:239] offset:32
	buffer_load_dword v0, off, s[36:39], 0 offset:188 ; 4-byte Folded Reload
	v_fma_f64 v[250:251], v[250:251], 2.0, -v[246:247]
	s_waitcnt vmcnt(0)
	ds_write_b128 v0, v[248:251]
	ds_write_b128 v0, v[244:247] offset:32
	s_waitcnt lgkmcnt(0)
	s_barrier
	ds_read_b128 v[0:3], v214
	ds_read_b128 v[4:7], v214 offset:3136
	ds_read_b128 v[8:11], v214 offset:6272
	;; [unrolled: 1-line block ×13, first 2 shown]
	s_waitcnt lgkmcnt(12)
	v_mul_f64 v[28:29], v[78:79], v[6:7]
	s_waitcnt lgkmcnt(0)
	s_barrier
	v_fma_f64 v[28:29], v[76:77], v[4:5], v[28:29]
	v_mul_f64 v[4:5], v[78:79], v[4:5]
	v_fma_f64 v[4:5], v[76:77], v[6:7], -v[4:5]
	v_mul_f64 v[6:7], v[74:75], v[10:11]
	v_fma_f64 v[6:7], v[72:73], v[8:9], v[6:7]
	v_mul_f64 v[8:9], v[74:75], v[8:9]
	v_fma_f64 v[8:9], v[72:73], v[10:11], -v[8:9]
	v_mul_f64 v[10:11], v[66:67], v[14:15]
	;; [unrolled: 4-line block ×6, first 2 shown]
	v_add_f64 v[54:55], v[4:5], v[24:25]
	v_fma_f64 v[30:31], v[100:101], v[204:205], v[26:27]
	v_mul_f64 v[26:27], v[102:103], v[204:205]
	v_add_f64 v[4:5], v[4:5], -v[24:25]
	v_add_f64 v[24:25], v[6:7], v[18:19]
	v_add_f64 v[6:7], v[6:7], -v[18:19]
	v_add_f64 v[18:19], v[10:11], v[14:15]
	v_add_f64 v[10:11], v[14:15], -v[10:11]
	v_fma_f64 v[32:33], v[100:101], v[206:207], -v[26:27]
	v_mul_f64 v[26:27], v[98:99], v[210:211]
	v_add_f64 v[64:65], v[10:11], v[6:7]
	v_add_f64 v[68:69], v[10:11], -v[6:7]
	v_fma_f64 v[34:35], v[96:97], v[208:209], v[26:27]
	v_mul_f64 v[26:27], v[98:99], v[208:209]
	v_fma_f64 v[36:37], v[96:97], v[210:211], -v[26:27]
	v_mul_f64 v[26:27], v[86:87], v[238:239]
	v_fma_f64 v[38:39], v[84:85], v[236:237], v[26:27]
	v_mul_f64 v[26:27], v[86:87], v[236:237]
	v_fma_f64 v[40:41], v[84:85], v[238:239], -v[26:27]
	v_mul_f64 v[26:27], v[82:83], v[242:243]
	;; [unrolled: 4-line block ×4, first 2 shown]
	v_fma_f64 v[50:51], v[88:89], v[248:249], v[26:27]
	v_mul_f64 v[26:27], v[90:91], v[248:249]
	v_fma_f64 v[52:53], v[88:89], v[250:251], -v[26:27]
	v_add_f64 v[26:27], v[28:29], v[22:23]
	v_add_f64 v[22:23], v[28:29], -v[22:23]
	v_add_f64 v[28:29], v[8:9], v[20:21]
	v_add_f64 v[8:9], v[8:9], -v[20:21]
	;; [unrolled: 2-line block ×5, first 2 shown]
	v_add_f64 v[26:27], v[26:27], -v[18:19]
	v_add_f64 v[54:55], v[54:55], -v[20:21]
	v_add_f64 v[24:25], v[18:19], -v[24:25]
	v_add_f64 v[28:29], v[20:21], -v[28:29]
	v_add_f64 v[66:67], v[12:13], v[8:9]
	v_add_f64 v[70:71], v[12:13], -v[8:9]
	v_add_f64 v[14:15], v[18:19], v[14:15]
	v_add_f64 v[16:17], v[20:21], v[16:17]
	v_add_f64 v[10:11], v[22:23], -v[10:11]
	v_add_f64 v[12:13], v[4:5], -v[12:13]
	;; [unrolled: 1-line block ×4, first 2 shown]
	v_add_f64 v[18:19], v[64:65], v[22:23]
	v_add_f64 v[4:5], v[66:67], v[4:5]
	;; [unrolled: 1-line block ×4, first 2 shown]
	v_mul_f64 v[20:21], v[26:27], s[4:5]
	v_mul_f64 v[22:23], v[54:55], s[4:5]
	;; [unrolled: 1-line block ×8, first 2 shown]
	v_fma_f64 v[14:15], v[14:15], s[10:11], v[0:1]
	v_fma_f64 v[16:17], v[16:17], s[10:11], v[2:3]
	;; [unrolled: 1-line block ×4, first 2 shown]
	v_fma_f64 v[26:27], v[60:61], s[14:15], -v[26:27]
	v_fma_f64 v[54:55], v[62:63], s[14:15], -v[54:55]
	;; [unrolled: 1-line block ×4, first 2 shown]
	v_fma_f64 v[60:61], v[10:11], s[22:23], v[64:65]
	v_fma_f64 v[6:7], v[6:7], s[6:7], -v[64:65]
	v_fma_f64 v[8:9], v[8:9], s[6:7], -v[66:67]
	v_fma_f64 v[62:63], v[12:13], s[22:23], v[66:67]
	v_fma_f64 v[10:11], v[10:11], s[16:17], v[68:69]
	;; [unrolled: 1-line block ×3, first 2 shown]
	v_add_f64 v[28:29], v[28:29], v[16:17]
	v_add_f64 v[26:27], v[26:27], v[14:15]
	;; [unrolled: 1-line block ×4, first 2 shown]
	v_fma_f64 v[60:61], v[18:19], s[20:21], v[60:61]
	v_fma_f64 v[64:65], v[18:19], s[20:21], v[6:7]
	;; [unrolled: 1-line block ×3, first 2 shown]
	v_add_f64 v[24:25], v[24:25], v[14:15]
	v_add_f64 v[20:21], v[20:21], v[14:15]
	v_fma_f64 v[66:67], v[18:19], s[20:21], v[10:11]
	v_fma_f64 v[68:69], v[4:5], s[20:21], v[12:13]
	;; [unrolled: 1-line block ×3, first 2 shown]
	v_add_f64 v[6:7], v[28:29], -v[60:61]
	v_add_f64 v[14:15], v[64:65], v[54:55]
	v_add_f64 v[12:13], v[26:27], -v[16:17]
	v_add_f64 v[16:17], v[16:17], v[26:27]
	;; [unrolled: 2-line block ×3, first 2 shown]
	v_add_f64 v[28:29], v[30:31], v[50:51]
	v_add_f64 v[54:55], v[32:33], v[52:53]
	v_add_f64 v[30:31], v[30:31], -v[50:51]
	v_add_f64 v[32:33], v[32:33], -v[52:53]
	v_add_f64 v[50:51], v[34:35], v[46:47]
	v_add_f64 v[52:53], v[36:37], v[48:49]
	v_add_f64 v[34:35], v[34:35], -v[46:47]
	v_add_f64 v[36:37], v[36:37], -v[48:49]
	;; [unrolled: 4-line block ×3, first 2 shown]
	v_add_f64 v[42:43], v[50:51], v[28:29]
	v_add_f64 v[44:45], v[52:53], v[54:55]
	;; [unrolled: 1-line block ×4, first 2 shown]
	v_add_f64 v[10:11], v[22:23], -v[66:67]
	v_add_f64 v[20:21], v[20:21], -v[68:69]
	v_add_f64 v[22:23], v[66:67], v[22:23]
	v_add_f64 v[24:25], v[24:25], -v[62:63]
	v_add_f64 v[60:61], v[50:51], -v[28:29]
	;; [unrolled: 1-line block ×7, first 2 shown]
	v_add_f64 v[64:65], v[38:39], v[34:35]
	v_add_f64 v[66:67], v[40:41], v[36:37]
	v_add_f64 v[68:69], v[38:39], -v[34:35]
	v_add_f64 v[70:71], v[40:41], -v[36:37]
	;; [unrolled: 1-line block ×4, first 2 shown]
	v_add_f64 v[42:43], v[46:47], v[42:43]
	v_add_f64 v[44:45], v[48:49], v[44:45]
	v_add_f64 v[38:39], v[30:31], -v[38:39]
	v_add_f64 v[40:41], v[32:33], -v[40:41]
	v_add_f64 v[30:31], v[64:65], v[30:31]
	v_add_f64 v[32:33], v[66:67], v[32:33]
	v_mul_f64 v[28:29], v[28:29], s[4:5]
	v_mul_f64 v[46:47], v[54:55], s[4:5]
	v_add_f64 v[56:57], v[56:57], v[42:43]
	v_add_f64 v[58:59], v[58:59], v[44:45]
	v_mul_f64 v[48:49], v[50:51], s[2:3]
	v_mul_f64 v[54:55], v[52:53], s[2:3]
	;; [unrolled: 1-line block ×6, first 2 shown]
	v_fma_f64 v[42:43], v[42:43], s[10:11], v[56:57]
	v_fma_f64 v[44:45], v[44:45], s[10:11], v[58:59]
	;; [unrolled: 1-line block ×4, first 2 shown]
	v_fma_f64 v[48:49], v[60:61], s[14:15], -v[48:49]
	v_fma_f64 v[54:55], v[62:63], s[14:15], -v[54:55]
	;; [unrolled: 1-line block ×4, first 2 shown]
	v_fma_f64 v[60:61], v[38:39], s[22:23], v[64:65]
	v_fma_f64 v[62:63], v[40:41], s[22:23], v[66:67]
	v_fma_f64 v[34:35], v[34:35], s[6:7], -v[64:65]
	v_fma_f64 v[36:37], v[36:37], s[6:7], -v[66:67]
	v_fma_f64 v[38:39], v[38:39], s[16:17], v[68:69]
	v_fma_f64 v[40:41], v[40:41], s[16:17], v[70:71]
	v_add_f64 v[50:51], v[50:51], v[42:43]
	v_add_f64 v[52:53], v[52:53], v[44:45]
	;; [unrolled: 1-line block ×6, first 2 shown]
	v_fma_f64 v[44:45], v[30:31], s[20:21], v[60:61]
	v_fma_f64 v[46:47], v[32:33], s[20:21], v[62:63]
	v_fma_f64 v[34:35], v[30:31], s[20:21], v[34:35]
	v_fma_f64 v[36:37], v[32:33], s[20:21], v[36:37]
	v_fma_f64 v[30:31], v[30:31], s[20:21], v[38:39]
	v_fma_f64 v[32:33], v[32:33], s[20:21], v[40:41]
	v_add_f64 v[62:63], v[52:53], -v[44:45]
	v_add_f64 v[60:61], v[46:47], v[50:51]
	v_add_f64 v[70:71], v[34:35], v[54:55]
	v_add_f64 v[68:69], v[48:49], -v[36:37]
	v_add_f64 v[66:67], v[42:43], -v[30:31]
	v_add_f64 v[64:65], v[32:33], v[28:29]
	v_add_f64 v[72:73], v[36:37], v[48:49]
	v_add_f64 v[74:75], v[54:55], -v[34:35]
	v_add_f64 v[76:77], v[28:29], -v[32:33]
	v_add_f64 v[78:79], v[30:31], v[42:43]
	v_add_f64 v[80:81], v[50:51], -v[46:47]
	v_add_f64 v[82:83], v[44:45], v[52:53]
	ds_write_b128 v232, v[0:3]
	ds_write_b128 v232, v[4:7] offset:64
	ds_write_b128 v232, v[8:11] offset:128
	;; [unrolled: 1-line block ×6, first 2 shown]
	ds_write_b128 v233, v[56:59]
	ds_write_b128 v233, v[60:63] offset:64
	ds_write_b128 v233, v[64:67] offset:128
	;; [unrolled: 1-line block ×6, first 2 shown]
	s_waitcnt lgkmcnt(0)
	s_barrier
	ds_read_b128 v[0:3], v214
	ds_read_b128 v[4:7], v214 offset:3136
	ds_read_b128 v[8:11], v214 offset:6272
	;; [unrolled: 1-line block ×13, first 2 shown]
	s_waitcnt lgkmcnt(12)
	v_mul_f64 v[28:29], v[126:127], v[6:7]
	s_waitcnt lgkmcnt(0)
	s_barrier
	v_fma_f64 v[28:29], v[124:125], v[4:5], v[28:29]
	v_mul_f64 v[4:5], v[126:127], v[4:5]
	v_fma_f64 v[4:5], v[124:125], v[6:7], -v[4:5]
	v_mul_f64 v[6:7], v[118:119], v[10:11]
	v_fma_f64 v[6:7], v[116:117], v[8:9], v[6:7]
	v_mul_f64 v[8:9], v[118:119], v[8:9]
	v_fma_f64 v[8:9], v[116:117], v[10:11], -v[8:9]
	v_mul_f64 v[10:11], v[114:115], v[14:15]
	;; [unrolled: 4-line block ×6, first 2 shown]
	v_add_f64 v[54:55], v[4:5], v[24:25]
	v_fma_f64 v[30:31], v[148:149], v[60:61], v[26:27]
	v_mul_f64 v[26:27], v[150:151], v[60:61]
	v_add_f64 v[4:5], v[4:5], -v[24:25]
	v_add_f64 v[24:25], v[6:7], v[18:19]
	v_add_f64 v[6:7], v[6:7], -v[18:19]
	v_add_f64 v[18:19], v[10:11], v[14:15]
	v_add_f64 v[10:11], v[14:15], -v[10:11]
	v_fma_f64 v[32:33], v[148:149], v[62:63], -v[26:27]
	v_mul_f64 v[26:27], v[146:147], v[66:67]
	v_fma_f64 v[34:35], v[144:145], v[64:65], v[26:27]
	v_mul_f64 v[26:27], v[146:147], v[64:65]
	v_add_f64 v[64:65], v[10:11], v[6:7]
	v_fma_f64 v[36:37], v[144:145], v[66:67], -v[26:27]
	v_mul_f64 v[26:27], v[138:139], v[70:71]
	v_fma_f64 v[38:39], v[136:137], v[68:69], v[26:27]
	v_mul_f64 v[26:27], v[138:139], v[68:69]
	v_add_f64 v[68:69], v[10:11], -v[6:7]
	v_fma_f64 v[40:41], v[136:137], v[70:71], -v[26:27]
	v_mul_f64 v[26:27], v[130:131], v[74:75]
	v_fma_f64 v[42:43], v[128:129], v[72:73], v[26:27]
	v_mul_f64 v[26:27], v[130:131], v[72:73]
	v_fma_f64 v[44:45], v[128:129], v[74:75], -v[26:27]
	v_mul_f64 v[26:27], v[154:155], v[78:79]
	v_fma_f64 v[46:47], v[152:153], v[76:77], v[26:27]
	v_mul_f64 v[26:27], v[154:155], v[76:77]
	;; [unrolled: 4-line block ×3, first 2 shown]
	v_fma_f64 v[52:53], v[140:141], v[82:83], -v[26:27]
	v_add_f64 v[26:27], v[28:29], v[22:23]
	v_add_f64 v[22:23], v[28:29], -v[22:23]
	v_add_f64 v[28:29], v[8:9], v[20:21]
	v_add_f64 v[8:9], v[8:9], -v[20:21]
	;; [unrolled: 2-line block ×5, first 2 shown]
	v_add_f64 v[26:27], v[26:27], -v[18:19]
	v_add_f64 v[54:55], v[54:55], -v[20:21]
	;; [unrolled: 1-line block ×4, first 2 shown]
	v_add_f64 v[66:67], v[12:13], v[8:9]
	v_add_f64 v[70:71], v[12:13], -v[8:9]
	v_add_f64 v[14:15], v[18:19], v[14:15]
	v_add_f64 v[16:17], v[20:21], v[16:17]
	v_add_f64 v[10:11], v[22:23], -v[10:11]
	v_add_f64 v[12:13], v[4:5], -v[12:13]
	v_add_f64 v[6:7], v[6:7], -v[22:23]
	v_add_f64 v[8:9], v[8:9], -v[4:5]
	v_add_f64 v[18:19], v[64:65], v[22:23]
	v_add_f64 v[4:5], v[66:67], v[4:5]
	;; [unrolled: 1-line block ×4, first 2 shown]
	v_mul_f64 v[20:21], v[26:27], s[4:5]
	v_mul_f64 v[22:23], v[54:55], s[4:5]
	;; [unrolled: 1-line block ×8, first 2 shown]
	v_fma_f64 v[14:15], v[14:15], s[10:11], v[0:1]
	v_fma_f64 v[16:17], v[16:17], s[10:11], v[2:3]
	;; [unrolled: 1-line block ×4, first 2 shown]
	v_fma_f64 v[26:27], v[60:61], s[14:15], -v[26:27]
	v_fma_f64 v[54:55], v[62:63], s[14:15], -v[54:55]
	;; [unrolled: 1-line block ×4, first 2 shown]
	v_fma_f64 v[60:61], v[10:11], s[22:23], v[64:65]
	v_fma_f64 v[6:7], v[6:7], s[6:7], -v[64:65]
	v_fma_f64 v[8:9], v[8:9], s[6:7], -v[66:67]
	v_fma_f64 v[62:63], v[12:13], s[22:23], v[66:67]
	v_fma_f64 v[10:11], v[10:11], s[16:17], v[68:69]
	;; [unrolled: 1-line block ×3, first 2 shown]
	v_add_f64 v[28:29], v[28:29], v[16:17]
	v_add_f64 v[26:27], v[26:27], v[14:15]
	;; [unrolled: 1-line block ×4, first 2 shown]
	v_fma_f64 v[60:61], v[18:19], s[20:21], v[60:61]
	v_fma_f64 v[64:65], v[18:19], s[20:21], v[6:7]
	;; [unrolled: 1-line block ×3, first 2 shown]
	v_add_f64 v[24:25], v[24:25], v[14:15]
	v_add_f64 v[20:21], v[20:21], v[14:15]
	v_fma_f64 v[66:67], v[18:19], s[20:21], v[10:11]
	v_fma_f64 v[68:69], v[4:5], s[20:21], v[12:13]
	;; [unrolled: 1-line block ×3, first 2 shown]
	v_add_f64 v[6:7], v[28:29], -v[60:61]
	v_add_f64 v[14:15], v[64:65], v[54:55]
	v_add_f64 v[12:13], v[26:27], -v[16:17]
	v_add_f64 v[16:17], v[16:17], v[26:27]
	v_add_f64 v[18:19], v[54:55], -v[64:65]
	v_add_f64 v[26:27], v[60:61], v[28:29]
	v_add_f64 v[28:29], v[30:31], v[50:51]
	v_add_f64 v[54:55], v[32:33], v[52:53]
	v_add_f64 v[30:31], v[30:31], -v[50:51]
	v_add_f64 v[32:33], v[32:33], -v[52:53]
	v_add_f64 v[50:51], v[34:35], v[46:47]
	v_add_f64 v[52:53], v[36:37], v[48:49]
	v_add_f64 v[34:35], v[34:35], -v[46:47]
	v_add_f64 v[36:37], v[36:37], -v[48:49]
	;; [unrolled: 4-line block ×3, first 2 shown]
	v_add_f64 v[42:43], v[50:51], v[28:29]
	v_add_f64 v[44:45], v[52:53], v[54:55]
	;; [unrolled: 1-line block ×4, first 2 shown]
	v_add_f64 v[10:11], v[22:23], -v[66:67]
	v_add_f64 v[20:21], v[20:21], -v[68:69]
	v_add_f64 v[22:23], v[66:67], v[22:23]
	v_add_f64 v[24:25], v[24:25], -v[62:63]
	v_add_f64 v[60:61], v[50:51], -v[28:29]
	;; [unrolled: 1-line block ×7, first 2 shown]
	v_add_f64 v[64:65], v[38:39], v[34:35]
	v_add_f64 v[66:67], v[40:41], v[36:37]
	v_add_f64 v[68:69], v[38:39], -v[34:35]
	v_add_f64 v[70:71], v[40:41], -v[36:37]
	;; [unrolled: 1-line block ×4, first 2 shown]
	v_add_f64 v[42:43], v[46:47], v[42:43]
	v_add_f64 v[44:45], v[48:49], v[44:45]
	v_add_f64 v[38:39], v[30:31], -v[38:39]
	v_add_f64 v[40:41], v[32:33], -v[40:41]
	v_add_f64 v[30:31], v[64:65], v[30:31]
	v_add_f64 v[32:33], v[66:67], v[32:33]
	v_mul_f64 v[28:29], v[28:29], s[4:5]
	v_mul_f64 v[46:47], v[54:55], s[4:5]
	v_add_f64 v[56:57], v[56:57], v[42:43]
	v_add_f64 v[58:59], v[58:59], v[44:45]
	v_mul_f64 v[48:49], v[50:51], s[2:3]
	v_mul_f64 v[54:55], v[52:53], s[2:3]
	;; [unrolled: 1-line block ×6, first 2 shown]
	v_fma_f64 v[42:43], v[42:43], s[10:11], v[56:57]
	v_fma_f64 v[44:45], v[44:45], s[10:11], v[58:59]
	;; [unrolled: 1-line block ×4, first 2 shown]
	v_fma_f64 v[48:49], v[60:61], s[14:15], -v[48:49]
	v_fma_f64 v[54:55], v[62:63], s[14:15], -v[54:55]
	v_fma_f64 v[28:29], v[60:61], s[18:19], -v[28:29]
	v_fma_f64 v[46:47], v[62:63], s[18:19], -v[46:47]
	v_fma_f64 v[60:61], v[38:39], s[22:23], v[64:65]
	v_fma_f64 v[62:63], v[40:41], s[22:23], v[66:67]
	v_fma_f64 v[34:35], v[34:35], s[6:7], -v[64:65]
	v_fma_f64 v[36:37], v[36:37], s[6:7], -v[66:67]
	v_fma_f64 v[38:39], v[38:39], s[16:17], v[68:69]
	v_fma_f64 v[40:41], v[40:41], s[16:17], v[70:71]
	v_add_f64 v[50:51], v[50:51], v[42:43]
	v_add_f64 v[52:53], v[52:53], v[44:45]
	;; [unrolled: 1-line block ×6, first 2 shown]
	v_fma_f64 v[44:45], v[30:31], s[20:21], v[60:61]
	v_fma_f64 v[46:47], v[32:33], s[20:21], v[62:63]
	;; [unrolled: 1-line block ×6, first 2 shown]
	v_add_f64 v[62:63], v[52:53], -v[44:45]
	v_add_f64 v[60:61], v[46:47], v[50:51]
	v_add_f64 v[70:71], v[34:35], v[54:55]
	v_add_f64 v[68:69], v[48:49], -v[36:37]
	v_add_f64 v[66:67], v[42:43], -v[30:31]
	v_add_f64 v[64:65], v[32:33], v[28:29]
	v_add_f64 v[72:73], v[36:37], v[48:49]
	v_add_f64 v[74:75], v[54:55], -v[34:35]
	v_add_f64 v[76:77], v[28:29], -v[32:33]
	v_add_f64 v[78:79], v[30:31], v[42:43]
	v_add_f64 v[80:81], v[50:51], -v[46:47]
	v_add_f64 v[82:83], v[44:45], v[52:53]
	ds_write_b128 v234, v[0:3]
	ds_write_b128 v234, v[4:7] offset:448
	ds_write_b128 v234, v[8:11] offset:896
	;; [unrolled: 1-line block ×6, first 2 shown]
	ds_write_b128 v235, v[56:59]
	ds_write_b128 v235, v[60:63] offset:448
	ds_write_b128 v235, v[64:67] offset:896
	;; [unrolled: 1-line block ×6, first 2 shown]
	s_waitcnt lgkmcnt(0)
	s_barrier
	ds_read_b128 v[0:3], v214
	ds_read_b128 v[4:7], v214 offset:3136
	ds_read_b128 v[8:11], v214 offset:6272
	;; [unrolled: 1-line block ×13, first 2 shown]
	s_waitcnt lgkmcnt(12)
	v_mul_f64 v[28:29], v[174:175], v[6:7]
	v_fma_f64 v[28:29], v[172:173], v[4:5], v[28:29]
	v_mul_f64 v[4:5], v[174:175], v[4:5]
	v_fma_f64 v[4:5], v[172:173], v[6:7], -v[4:5]
	s_waitcnt lgkmcnt(11)
	v_mul_f64 v[6:7], v[170:171], v[10:11]
	v_fma_f64 v[6:7], v[168:169], v[8:9], v[6:7]
	v_mul_f64 v[8:9], v[170:171], v[8:9]
	v_fma_f64 v[8:9], v[168:169], v[10:11], -v[8:9]
	s_waitcnt lgkmcnt(10)
	v_mul_f64 v[10:11], v[162:163], v[14:15]
	v_fma_f64 v[10:11], v[160:161], v[12:13], v[10:11]
	v_mul_f64 v[12:13], v[162:163], v[12:13]
	v_fma_f64 v[12:13], v[160:161], v[14:15], -v[12:13]
	s_waitcnt lgkmcnt(9)
	v_mul_f64 v[14:15], v[158:159], v[18:19]
	v_fma_f64 v[14:15], v[156:157], v[16:17], v[14:15]
	v_mul_f64 v[16:17], v[158:159], v[16:17]
	v_fma_f64 v[16:17], v[156:157], v[18:19], -v[16:17]
	s_waitcnt lgkmcnt(8)
	v_mul_f64 v[18:19], v[178:179], v[22:23]
	v_fma_f64 v[18:19], v[176:177], v[20:21], v[18:19]
	v_mul_f64 v[20:21], v[178:179], v[20:21]
	v_fma_f64 v[20:21], v[176:177], v[22:23], -v[20:21]
	s_waitcnt lgkmcnt(7)
	v_mul_f64 v[22:23], v[166:167], v[26:27]
	v_fma_f64 v[22:23], v[164:165], v[24:25], v[22:23]
	v_mul_f64 v[24:25], v[166:167], v[24:25]
	v_fma_f64 v[24:25], v[164:165], v[26:27], -v[24:25]
	s_waitcnt lgkmcnt(5)
	v_mul_f64 v[26:27], v[194:195], v[62:63]
	v_add_f64 v[54:55], v[4:5], v[24:25]
	v_fma_f64 v[30:31], v[192:193], v[60:61], v[26:27]
	v_mul_f64 v[26:27], v[194:195], v[60:61]
	v_add_f64 v[4:5], v[4:5], -v[24:25]
	v_add_f64 v[24:25], v[6:7], v[18:19]
	v_add_f64 v[6:7], v[6:7], -v[18:19]
	v_add_f64 v[18:19], v[10:11], v[14:15]
	v_add_f64 v[10:11], v[14:15], -v[10:11]
	v_fma_f64 v[32:33], v[192:193], v[62:63], -v[26:27]
	s_waitcnt lgkmcnt(4)
	v_mul_f64 v[26:27], v[190:191], v[66:67]
	v_fma_f64 v[34:35], v[188:189], v[64:65], v[26:27]
	v_mul_f64 v[26:27], v[190:191], v[64:65]
	v_add_f64 v[64:65], v[10:11], v[6:7]
	v_fma_f64 v[36:37], v[188:189], v[66:67], -v[26:27]
	s_waitcnt lgkmcnt(3)
	v_mul_f64 v[26:27], v[186:187], v[70:71]
	v_fma_f64 v[38:39], v[184:185], v[68:69], v[26:27]
	v_mul_f64 v[26:27], v[186:187], v[68:69]
	v_add_f64 v[68:69], v[10:11], -v[6:7]
	v_fma_f64 v[40:41], v[184:185], v[70:71], -v[26:27]
	s_waitcnt lgkmcnt(2)
	v_mul_f64 v[26:27], v[182:183], v[74:75]
	v_fma_f64 v[42:43], v[180:181], v[72:73], v[26:27]
	v_mul_f64 v[26:27], v[182:183], v[72:73]
	v_fma_f64 v[44:45], v[180:181], v[74:75], -v[26:27]
	s_waitcnt lgkmcnt(1)
	v_mul_f64 v[26:27], v[202:203], v[78:79]
	v_fma_f64 v[46:47], v[200:201], v[76:77], v[26:27]
	v_mul_f64 v[26:27], v[202:203], v[76:77]
	;; [unrolled: 5-line block ×3, first 2 shown]
	v_fma_f64 v[52:53], v[196:197], v[82:83], -v[26:27]
	v_add_f64 v[26:27], v[28:29], v[22:23]
	v_add_f64 v[22:23], v[28:29], -v[22:23]
	v_add_f64 v[28:29], v[8:9], v[20:21]
	v_add_f64 v[8:9], v[8:9], -v[20:21]
	;; [unrolled: 2-line block ×5, first 2 shown]
	v_add_f64 v[26:27], v[26:27], -v[18:19]
	v_add_f64 v[54:55], v[54:55], -v[20:21]
	;; [unrolled: 1-line block ×4, first 2 shown]
	v_add_f64 v[66:67], v[12:13], v[8:9]
	v_add_f64 v[70:71], v[12:13], -v[8:9]
	v_add_f64 v[14:15], v[18:19], v[14:15]
	v_add_f64 v[16:17], v[20:21], v[16:17]
	v_add_f64 v[10:11], v[22:23], -v[10:11]
	v_add_f64 v[12:13], v[4:5], -v[12:13]
	v_add_f64 v[6:7], v[6:7], -v[22:23]
	v_add_f64 v[8:9], v[8:9], -v[4:5]
	v_add_f64 v[18:19], v[64:65], v[22:23]
	v_add_f64 v[4:5], v[66:67], v[4:5]
	;; [unrolled: 1-line block ×4, first 2 shown]
	v_mul_f64 v[20:21], v[26:27], s[4:5]
	v_mul_f64 v[22:23], v[54:55], s[4:5]
	;; [unrolled: 1-line block ×8, first 2 shown]
	v_fma_f64 v[14:15], v[14:15], s[10:11], v[0:1]
	v_fma_f64 v[16:17], v[16:17], s[10:11], v[2:3]
	;; [unrolled: 1-line block ×4, first 2 shown]
	v_fma_f64 v[26:27], v[60:61], s[14:15], -v[26:27]
	v_fma_f64 v[54:55], v[62:63], s[14:15], -v[54:55]
	v_fma_f64 v[20:21], v[60:61], s[18:19], -v[20:21]
	v_fma_f64 v[22:23], v[62:63], s[18:19], -v[22:23]
	v_fma_f64 v[60:61], v[10:11], s[22:23], v[64:65]
	v_fma_f64 v[6:7], v[6:7], s[6:7], -v[64:65]
	v_fma_f64 v[8:9], v[8:9], s[6:7], -v[66:67]
	v_fma_f64 v[62:63], v[12:13], s[22:23], v[66:67]
	v_fma_f64 v[10:11], v[10:11], s[16:17], v[68:69]
	v_fma_f64 v[12:13], v[12:13], s[16:17], v[70:71]
	v_add_f64 v[28:29], v[28:29], v[16:17]
	v_add_f64 v[26:27], v[26:27], v[14:15]
	v_add_f64 v[54:55], v[54:55], v[16:17]
	v_add_f64 v[22:23], v[22:23], v[16:17]
	v_fma_f64 v[60:61], v[18:19], s[20:21], v[60:61]
	v_fma_f64 v[64:65], v[18:19], s[20:21], v[6:7]
	;; [unrolled: 1-line block ×3, first 2 shown]
	v_add_f64 v[24:25], v[24:25], v[14:15]
	v_add_f64 v[20:21], v[20:21], v[14:15]
	v_fma_f64 v[66:67], v[18:19], s[20:21], v[10:11]
	v_fma_f64 v[68:69], v[4:5], s[20:21], v[12:13]
	;; [unrolled: 1-line block ×3, first 2 shown]
	v_add_f64 v[6:7], v[28:29], -v[60:61]
	v_add_f64 v[14:15], v[64:65], v[54:55]
	v_add_f64 v[12:13], v[26:27], -v[16:17]
	v_add_f64 v[16:17], v[16:17], v[26:27]
	;; [unrolled: 2-line block ×3, first 2 shown]
	v_add_f64 v[28:29], v[30:31], v[50:51]
	v_add_f64 v[54:55], v[32:33], v[52:53]
	v_add_f64 v[30:31], v[30:31], -v[50:51]
	v_add_f64 v[32:33], v[32:33], -v[52:53]
	v_add_f64 v[50:51], v[34:35], v[46:47]
	v_add_f64 v[52:53], v[36:37], v[48:49]
	v_add_f64 v[34:35], v[34:35], -v[46:47]
	v_add_f64 v[36:37], v[36:37], -v[48:49]
	;; [unrolled: 4-line block ×3, first 2 shown]
	v_add_f64 v[42:43], v[50:51], v[28:29]
	v_add_f64 v[44:45], v[52:53], v[54:55]
	v_add_f64 v[4:5], v[62:63], v[24:25]
	v_add_f64 v[8:9], v[68:69], v[20:21]
	v_add_f64 v[10:11], v[22:23], -v[66:67]
	v_add_f64 v[20:21], v[20:21], -v[68:69]
	v_add_f64 v[22:23], v[66:67], v[22:23]
	v_add_f64 v[24:25], v[24:25], -v[62:63]
	v_add_f64 v[60:61], v[50:51], -v[28:29]
	;; [unrolled: 1-line block ×7, first 2 shown]
	v_add_f64 v[64:65], v[38:39], v[34:35]
	v_add_f64 v[66:67], v[40:41], v[36:37]
	v_add_f64 v[68:69], v[38:39], -v[34:35]
	v_add_f64 v[70:71], v[40:41], -v[36:37]
	;; [unrolled: 1-line block ×4, first 2 shown]
	v_add_f64 v[42:43], v[46:47], v[42:43]
	v_add_f64 v[44:45], v[48:49], v[44:45]
	v_add_f64 v[38:39], v[30:31], -v[38:39]
	v_add_f64 v[40:41], v[32:33], -v[40:41]
	v_add_f64 v[30:31], v[64:65], v[30:31]
	v_add_f64 v[32:33], v[66:67], v[32:33]
	v_mul_f64 v[28:29], v[28:29], s[4:5]
	v_mul_f64 v[46:47], v[54:55], s[4:5]
	v_add_f64 v[56:57], v[56:57], v[42:43]
	v_add_f64 v[58:59], v[58:59], v[44:45]
	v_mul_f64 v[48:49], v[50:51], s[2:3]
	v_mul_f64 v[54:55], v[52:53], s[2:3]
	;; [unrolled: 1-line block ×6, first 2 shown]
	v_fma_f64 v[42:43], v[42:43], s[10:11], v[56:57]
	v_fma_f64 v[44:45], v[44:45], s[10:11], v[58:59]
	;; [unrolled: 1-line block ×4, first 2 shown]
	v_fma_f64 v[48:49], v[60:61], s[14:15], -v[48:49]
	v_fma_f64 v[54:55], v[62:63], s[14:15], -v[54:55]
	;; [unrolled: 1-line block ×4, first 2 shown]
	v_fma_f64 v[60:61], v[38:39], s[22:23], v[64:65]
	v_fma_f64 v[62:63], v[40:41], s[22:23], v[66:67]
	v_fma_f64 v[34:35], v[34:35], s[6:7], -v[64:65]
	v_fma_f64 v[36:37], v[36:37], s[6:7], -v[66:67]
	v_fma_f64 v[38:39], v[38:39], s[16:17], v[68:69]
	v_fma_f64 v[40:41], v[40:41], s[16:17], v[70:71]
	v_add_f64 v[50:51], v[50:51], v[42:43]
	v_add_f64 v[52:53], v[52:53], v[44:45]
	;; [unrolled: 1-line block ×6, first 2 shown]
	v_fma_f64 v[44:45], v[30:31], s[20:21], v[60:61]
	v_fma_f64 v[46:47], v[32:33], s[20:21], v[62:63]
	;; [unrolled: 1-line block ×6, first 2 shown]
	s_mov_b32 s2, 0x515a4f1d
	s_mov_b32 s3, 0x3f47e225
	v_add_f64 v[62:63], v[52:53], -v[44:45]
	v_add_f64 v[60:61], v[46:47], v[50:51]
	v_add_f64 v[70:71], v[34:35], v[54:55]
	v_add_f64 v[68:69], v[48:49], -v[36:37]
	v_add_f64 v[66:67], v[42:43], -v[30:31]
	v_add_f64 v[64:65], v[32:33], v[28:29]
	v_add_f64 v[72:73], v[36:37], v[48:49]
	v_add_f64 v[74:75], v[54:55], -v[34:35]
	v_add_f64 v[76:77], v[28:29], -v[32:33]
	v_add_f64 v[78:79], v[30:31], v[42:43]
	v_add_f64 v[80:81], v[50:51], -v[46:47]
	v_add_f64 v[82:83], v[44:45], v[52:53]
	ds_write_b128 v214, v[0:3]
	ds_write_b128 v214, v[4:7] offset:3136
	ds_write_b128 v214, v[8:11] offset:6272
	;; [unrolled: 1-line block ×13, first 2 shown]
	s_waitcnt lgkmcnt(0)
	s_barrier
	ds_read_b128 v[0:3], v214
	buffer_load_dword v6, off, s[36:39], 0 offset:80 ; 4-byte Folded Reload
	buffer_load_dword v7, off, s[36:39], 0 offset:84 ; 4-byte Folded Reload
	;; [unrolled: 1-line block ×4, first 2 shown]
	s_mul_hi_u32 s6, s0, 0xffffdb40
	s_sub_i32 s6, s6, s0
	s_waitcnt vmcnt(0) lgkmcnt(0)
	v_mul_f64 v[4:5], v[8:9], v[2:3]
	v_fma_f64 v[4:5], v[6:7], v[0:1], v[4:5]
	v_mul_f64 v[0:1], v[8:9], v[0:1]
	v_mov_b32_e32 v8, s13
	v_mul_f64 v[4:5], v[4:5], s[2:3]
	v_fma_f64 v[0:1], v[6:7], v[2:3], -v[0:1]
	v_mul_f64 v[6:7], v[0:1], s[2:3]
	v_mad_u64_u32 v[0:1], s[4:5], s0, v215, 0
	v_mad_u64_u32 v[1:2], s[4:5], s1, v215, v[1:2]
	v_lshlrev_b64 v[2:3], 4, v[212:213]
	s_mul_i32 s4, s1, 0x2ae0
	v_add_co_u32_e32 v2, vcc, s12, v2
	v_lshlrev_b64 v[0:1], 4, v[0:1]
	v_addc_co_u32_e32 v3, vcc, v8, v3, vcc
	v_add_co_u32_e32 v8, vcc, v2, v0
	v_addc_co_u32_e32 v9, vcc, v3, v1, vcc
	global_store_dwordx4 v[8:9], v[4:7], off
	ds_read_b128 v[0:3], v214 offset:10976
	buffer_load_dword v10, off, s[36:39], 0 offset:112 ; 4-byte Folded Reload
	buffer_load_dword v11, off, s[36:39], 0 offset:116 ; 4-byte Folded Reload
	;; [unrolled: 1-line block ×4, first 2 shown]
	s_mul_hi_u32 s5, s0, 0x2ae0
	s_add_i32 s4, s5, s4
	s_mul_i32 s5, s0, 0x2ae0
	v_add_co_u32_e32 v8, vcc, s5, v8
	s_mulk_i32 s1, 0xdb40
	s_add_i32 s1, s6, s1
	s_mulk_i32 s0, 0xdb40
	s_waitcnt vmcnt(0) lgkmcnt(0)
	v_mul_f64 v[4:5], v[12:13], v[2:3]
	v_fma_f64 v[4:5], v[10:11], v[0:1], v[4:5]
	v_mul_f64 v[0:1], v[12:13], v[0:1]
	v_mul_f64 v[4:5], v[4:5], s[2:3]
	v_fma_f64 v[0:1], v[10:11], v[2:3], -v[0:1]
	v_mul_f64 v[6:7], v[0:1], s[2:3]
	v_mov_b32_e32 v0, s4
	v_addc_co_u32_e32 v9, vcc, v9, v0, vcc
	ds_read_b128 v[0:3], v214 offset:1568
	global_store_dwordx4 v[8:9], v[4:7], off
	buffer_load_dword v10, off, s[36:39], 0 offset:32 ; 4-byte Folded Reload
	buffer_load_dword v11, off, s[36:39], 0 offset:36 ; 4-byte Folded Reload
	buffer_load_dword v12, off, s[36:39], 0 offset:40 ; 4-byte Folded Reload
	buffer_load_dword v13, off, s[36:39], 0 offset:44 ; 4-byte Folded Reload
	v_add_co_u32_e32 v8, vcc, s0, v8
	s_waitcnt vmcnt(0) lgkmcnt(0)
	v_mul_f64 v[4:5], v[12:13], v[2:3]
	v_fma_f64 v[4:5], v[10:11], v[0:1], v[4:5]
	v_mul_f64 v[0:1], v[12:13], v[0:1]
	v_mul_f64 v[4:5], v[4:5], s[2:3]
	v_fma_f64 v[0:1], v[10:11], v[2:3], -v[0:1]
	v_mul_f64 v[6:7], v[0:1], s[2:3]
	v_mov_b32_e32 v0, s1
	v_addc_co_u32_e32 v9, vcc, v9, v0, vcc
	ds_read_b128 v[0:3], v214 offset:12544
	global_store_dwordx4 v[8:9], v[4:7], off
	buffer_load_dword v10, off, s[36:39], 0 offset:48 ; 4-byte Folded Reload
	buffer_load_dword v11, off, s[36:39], 0 offset:52 ; 4-byte Folded Reload
	buffer_load_dword v12, off, s[36:39], 0 offset:56 ; 4-byte Folded Reload
	buffer_load_dword v13, off, s[36:39], 0 offset:60 ; 4-byte Folded Reload
	v_add_co_u32_e32 v8, vcc, s5, v8
	;; [unrolled: 16-line block ×7, first 2 shown]
	s_waitcnt vmcnt(0) lgkmcnt(0)
	v_mul_f64 v[4:5], v[12:13], v[2:3]
	v_fma_f64 v[4:5], v[10:11], v[0:1], v[4:5]
	v_mul_f64 v[0:1], v[12:13], v[0:1]
	v_mul_f64 v[4:5], v[4:5], s[2:3]
	v_fma_f64 v[0:1], v[10:11], v[2:3], -v[0:1]
	v_mul_f64 v[6:7], v[0:1], s[2:3]
	v_mov_b32_e32 v0, s1
	v_addc_co_u32_e32 v9, vcc, v9, v0, vcc
	ds_read_b128 v[0:3], v214 offset:17248
	global_store_dwordx4 v[8:9], v[4:7], off
	s_waitcnt lgkmcnt(0)
	v_mul_f64 v[4:5], v[228:229], v[2:3]
	v_add_co_u32_e32 v8, vcc, s5, v8
	v_fma_f64 v[4:5], v[226:227], v[0:1], v[4:5]
	v_mul_f64 v[0:1], v[228:229], v[0:1]
	v_mul_f64 v[4:5], v[4:5], s[2:3]
	v_fma_f64 v[0:1], v[226:227], v[2:3], -v[0:1]
	v_mul_f64 v[6:7], v[0:1], s[2:3]
	v_mov_b32_e32 v0, s4
	v_addc_co_u32_e32 v9, vcc, v9, v0, vcc
	ds_read_b128 v[0:3], v214 offset:7840
	global_store_dwordx4 v[8:9], v[4:7], off
	s_waitcnt lgkmcnt(0)
	v_mul_f64 v[4:5], v[224:225], v[2:3]
	v_add_co_u32_e32 v8, vcc, s0, v8
	;; [unrolled: 12-line block ×3, first 2 shown]
	v_fma_f64 v[4:5], v[218:219], v[0:1], v[4:5]
	v_mul_f64 v[0:1], v[220:221], v[0:1]
	v_mul_f64 v[4:5], v[4:5], s[2:3]
	v_fma_f64 v[0:1], v[218:219], v[2:3], -v[0:1]
	v_mul_f64 v[6:7], v[0:1], s[2:3]
	v_mov_b32_e32 v0, s4
	v_addc_co_u32_e32 v9, vcc, v9, v0, vcc
	ds_read_b128 v[0:3], v214 offset:9408
	global_store_dwordx4 v[8:9], v[4:7], off
	buffer_load_dword v10, off, s[36:39], 0 ; 4-byte Folded Reload
	buffer_load_dword v11, off, s[36:39], 0 offset:4 ; 4-byte Folded Reload
	buffer_load_dword v12, off, s[36:39], 0 offset:8 ; 4-byte Folded Reload
	;; [unrolled: 1-line block ×3, first 2 shown]
	v_add_co_u32_e32 v8, vcc, s0, v8
	s_waitcnt vmcnt(0) lgkmcnt(0)
	v_mul_f64 v[4:5], v[12:13], v[2:3]
	v_fma_f64 v[4:5], v[10:11], v[0:1], v[4:5]
	v_mul_f64 v[0:1], v[12:13], v[0:1]
	v_mul_f64 v[4:5], v[4:5], s[2:3]
	v_fma_f64 v[0:1], v[10:11], v[2:3], -v[0:1]
	v_mul_f64 v[6:7], v[0:1], s[2:3]
	v_mov_b32_e32 v0, s1
	v_addc_co_u32_e32 v9, vcc, v9, v0, vcc
	ds_read_b128 v[0:3], v214 offset:20384
	global_store_dwordx4 v[8:9], v[4:7], off
	buffer_load_dword v10, off, s[36:39], 0 offset:16 ; 4-byte Folded Reload
	buffer_load_dword v11, off, s[36:39], 0 offset:20 ; 4-byte Folded Reload
	;; [unrolled: 1-line block ×4, first 2 shown]
	s_waitcnt vmcnt(0) lgkmcnt(0)
	v_mul_f64 v[4:5], v[12:13], v[2:3]
	v_fma_f64 v[4:5], v[10:11], v[0:1], v[4:5]
	v_mul_f64 v[0:1], v[12:13], v[0:1]
	v_mul_f64 v[4:5], v[4:5], s[2:3]
	v_fma_f64 v[0:1], v[10:11], v[2:3], -v[0:1]
	v_mul_f64 v[6:7], v[0:1], s[2:3]
	v_add_co_u32_e32 v0, vcc, s5, v8
	v_mov_b32_e32 v1, s4
	v_addc_co_u32_e32 v1, vcc, v9, v1, vcc
	global_store_dwordx4 v[0:1], v[4:7], off
.LBB0_2:
	s_endpgm
	.section	.rodata,"a",@progbits
	.p2align	6, 0x0
	.amdhsa_kernel bluestein_single_fwd_len1372_dim1_dp_op_CI_CI
		.amdhsa_group_segment_fixed_size 43904
		.amdhsa_private_segment_fixed_size 220
		.amdhsa_kernarg_size 104
		.amdhsa_user_sgpr_count 6
		.amdhsa_user_sgpr_private_segment_buffer 1
		.amdhsa_user_sgpr_dispatch_ptr 0
		.amdhsa_user_sgpr_queue_ptr 0
		.amdhsa_user_sgpr_kernarg_segment_ptr 1
		.amdhsa_user_sgpr_dispatch_id 0
		.amdhsa_user_sgpr_flat_scratch_init 0
		.amdhsa_user_sgpr_private_segment_size 0
		.amdhsa_uses_dynamic_stack 0
		.amdhsa_system_sgpr_private_segment_wavefront_offset 1
		.amdhsa_system_sgpr_workgroup_id_x 1
		.amdhsa_system_sgpr_workgroup_id_y 0
		.amdhsa_system_sgpr_workgroup_id_z 0
		.amdhsa_system_sgpr_workgroup_info 0
		.amdhsa_system_vgpr_workitem_id 0
		.amdhsa_next_free_vgpr 256
		.amdhsa_next_free_sgpr 40
		.amdhsa_reserve_vcc 1
		.amdhsa_reserve_flat_scratch 0
		.amdhsa_float_round_mode_32 0
		.amdhsa_float_round_mode_16_64 0
		.amdhsa_float_denorm_mode_32 3
		.amdhsa_float_denorm_mode_16_64 3
		.amdhsa_dx10_clamp 1
		.amdhsa_ieee_mode 1
		.amdhsa_fp16_overflow 0
		.amdhsa_exception_fp_ieee_invalid_op 0
		.amdhsa_exception_fp_denorm_src 0
		.amdhsa_exception_fp_ieee_div_zero 0
		.amdhsa_exception_fp_ieee_overflow 0
		.amdhsa_exception_fp_ieee_underflow 0
		.amdhsa_exception_fp_ieee_inexact 0
		.amdhsa_exception_int_div_zero 0
	.end_amdhsa_kernel
	.text
.Lfunc_end0:
	.size	bluestein_single_fwd_len1372_dim1_dp_op_CI_CI, .Lfunc_end0-bluestein_single_fwd_len1372_dim1_dp_op_CI_CI
                                        ; -- End function
	.section	.AMDGPU.csdata,"",@progbits
; Kernel info:
; codeLenInByte = 19392
; NumSgprs: 44
; NumVgprs: 256
; ScratchSize: 220
; MemoryBound: 0
; FloatMode: 240
; IeeeMode: 1
; LDSByteSize: 43904 bytes/workgroup (compile time only)
; SGPRBlocks: 5
; VGPRBlocks: 63
; NumSGPRsForWavesPerEU: 44
; NumVGPRsForWavesPerEU: 256
; Occupancy: 1
; WaveLimiterHint : 1
; COMPUTE_PGM_RSRC2:SCRATCH_EN: 1
; COMPUTE_PGM_RSRC2:USER_SGPR: 6
; COMPUTE_PGM_RSRC2:TRAP_HANDLER: 0
; COMPUTE_PGM_RSRC2:TGID_X_EN: 1
; COMPUTE_PGM_RSRC2:TGID_Y_EN: 0
; COMPUTE_PGM_RSRC2:TGID_Z_EN: 0
; COMPUTE_PGM_RSRC2:TIDIG_COMP_CNT: 0
	.type	__hip_cuid_45582c9ebaee2199,@object ; @__hip_cuid_45582c9ebaee2199
	.section	.bss,"aw",@nobits
	.globl	__hip_cuid_45582c9ebaee2199
__hip_cuid_45582c9ebaee2199:
	.byte	0                               ; 0x0
	.size	__hip_cuid_45582c9ebaee2199, 1

	.ident	"AMD clang version 19.0.0git (https://github.com/RadeonOpenCompute/llvm-project roc-6.4.0 25133 c7fe45cf4b819c5991fe208aaa96edf142730f1d)"
	.section	".note.GNU-stack","",@progbits
	.addrsig
	.addrsig_sym __hip_cuid_45582c9ebaee2199
	.amdgpu_metadata
---
amdhsa.kernels:
  - .args:
      - .actual_access:  read_only
        .address_space:  global
        .offset:         0
        .size:           8
        .value_kind:     global_buffer
      - .actual_access:  read_only
        .address_space:  global
        .offset:         8
        .size:           8
        .value_kind:     global_buffer
      - .actual_access:  read_only
        .address_space:  global
        .offset:         16
        .size:           8
        .value_kind:     global_buffer
      - .actual_access:  read_only
        .address_space:  global
        .offset:         24
        .size:           8
        .value_kind:     global_buffer
      - .actual_access:  read_only
        .address_space:  global
        .offset:         32
        .size:           8
        .value_kind:     global_buffer
      - .offset:         40
        .size:           8
        .value_kind:     by_value
      - .address_space:  global
        .offset:         48
        .size:           8
        .value_kind:     global_buffer
      - .address_space:  global
        .offset:         56
        .size:           8
        .value_kind:     global_buffer
      - .address_space:  global
        .offset:         64
        .size:           8
        .value_kind:     global_buffer
      - .address_space:  global
        .offset:         72
        .size:           8
        .value_kind:     global_buffer
      - .offset:         80
        .size:           4
        .value_kind:     by_value
      - .address_space:  global
        .offset:         88
        .size:           8
        .value_kind:     global_buffer
      - .address_space:  global
        .offset:         96
        .size:           8
        .value_kind:     global_buffer
    .group_segment_fixed_size: 43904
    .kernarg_segment_align: 8
    .kernarg_segment_size: 104
    .language:       OpenCL C
    .language_version:
      - 2
      - 0
    .max_flat_workgroup_size: 196
    .name:           bluestein_single_fwd_len1372_dim1_dp_op_CI_CI
    .private_segment_fixed_size: 220
    .sgpr_count:     44
    .sgpr_spill_count: 0
    .symbol:         bluestein_single_fwd_len1372_dim1_dp_op_CI_CI.kd
    .uniform_work_group_size: 1
    .uses_dynamic_stack: false
    .vgpr_count:     256
    .vgpr_spill_count: 54
    .wavefront_size: 64
amdhsa.target:   amdgcn-amd-amdhsa--gfx906
amdhsa.version:
  - 1
  - 2
...

	.end_amdgpu_metadata
